;; amdgpu-corpus repo=ROCm/rocFFT kind=compiled arch=gfx906 opt=O3
	.text
	.amdgcn_target "amdgcn-amd-amdhsa--gfx906"
	.amdhsa_code_object_version 6
	.protected	bluestein_single_back_len935_dim1_sp_op_CI_CI ; -- Begin function bluestein_single_back_len935_dim1_sp_op_CI_CI
	.globl	bluestein_single_back_len935_dim1_sp_op_CI_CI
	.p2align	8
	.type	bluestein_single_back_len935_dim1_sp_op_CI_CI,@function
bluestein_single_back_len935_dim1_sp_op_CI_CI: ; @bluestein_single_back_len935_dim1_sp_op_CI_CI
; %bb.0:
	s_mov_b64 s[26:27], s[2:3]
	v_mul_u32_u24_e32 v1, 0x304, v0
	s_mov_b64 s[24:25], s[0:1]
	s_load_dwordx4 s[0:3], s[4:5], 0x28
	v_lshrrev_b32_e32 v1, 16, v1
	s_add_u32 s24, s24, s7
	v_mad_u64_u32 v[87:88], s[6:7], s6, 3, v[1:2]
	v_mov_b32_e32 v88, 0
	s_addc_u32 s25, s25, 0
	s_waitcnt lgkmcnt(0)
	v_cmp_gt_u64_e32 vcc, s[0:1], v[87:88]
	s_and_saveexec_b64 s[0:1], vcc
	s_cbranch_execz .LBB0_23
; %bb.1:
	s_mov_b32 s0, 0xaaaaaaab
	v_mul_hi_u32 v2, v87, s0
	v_mul_lo_u16_e32 v1, 0x55, v1
	s_load_dwordx2 s[8:9], s[4:5], 0x0
	s_load_dwordx2 s[10:11], s[4:5], 0x38
	v_sub_u16_e32 v91, v0, v1
	v_lshrrev_b32_e32 v0, 1, v2
	v_lshl_add_u32 v0, v0, 1, v0
	v_sub_u32_e32 v0, v87, v0
	v_mul_u32_u24_e32 v92, 0x3a7, v0
	v_cmp_gt_u16_e64 s[0:1], 55, v91
	v_lshlrev_b32_e32 v90, 3, v91
	v_lshlrev_b32_e32 v93, 3, v92
	s_and_saveexec_b64 s[6:7], s[0:1]
	s_cbranch_execz .LBB0_3
; %bb.2:
	s_load_dwordx2 s[12:13], s[4:5], 0x18
	s_waitcnt lgkmcnt(0)
	s_load_dwordx4 s[12:15], s[12:13], 0x0
	s_waitcnt lgkmcnt(0)
	v_mad_u64_u32 v[0:1], s[16:17], s14, v87, 0
	v_mad_u64_u32 v[2:3], s[16:17], s12, v91, 0
	;; [unrolled: 1-line block ×4, first 2 shown]
	v_mov_b32_e32 v1, v4
	v_lshlrev_b64 v[0:1], 3, v[0:1]
	v_mov_b32_e32 v3, v5
	v_mov_b32_e32 v6, s3
	v_lshlrev_b64 v[2:3], 3, v[2:3]
	v_add_co_u32_e32 v0, vcc, s2, v0
	v_addc_co_u32_e32 v1, vcc, v6, v1, vcc
	v_add_co_u32_e32 v0, vcc, v0, v2
	v_addc_co_u32_e32 v1, vcc, v1, v3, vcc
	v_mov_b32_e32 v2, s9
	v_add_co_u32_e32 v44, vcc, s8, v90
	s_mul_i32 s2, s13, 0x1b8
	s_mul_hi_u32 s3, s12, 0x1b8
	v_addc_co_u32_e32 v45, vcc, 0, v2, vcc
	s_add_i32 s2, s3, s2
	s_mul_i32 s3, s12, 0x1b8
	v_mov_b32_e32 v3, s2
	v_add_co_u32_e32 v2, vcc, s3, v0
	v_addc_co_u32_e32 v3, vcc, v1, v3, vcc
	v_mov_b32_e32 v5, s2
	v_add_co_u32_e32 v4, vcc, s3, v2
	v_addc_co_u32_e32 v5, vcc, v3, v5, vcc
	v_mov_b32_e32 v7, s2
	v_add_co_u32_e32 v6, vcc, s3, v4
	v_addc_co_u32_e32 v7, vcc, v5, v7, vcc
	global_load_dwordx2 v[8:9], v[0:1], off
	global_load_dwordx2 v[10:11], v[2:3], off
	global_load_dwordx2 v[12:13], v[4:5], off
	global_load_dwordx2 v[14:15], v[6:7], off
	global_load_dwordx2 v[16:17], v90, s[8:9]
	global_load_dwordx2 v[18:19], v90, s[8:9] offset:440
	global_load_dwordx2 v[20:21], v90, s[8:9] offset:880
	;; [unrolled: 1-line block ×3, first 2 shown]
	v_mov_b32_e32 v1, s2
	v_add_co_u32_e32 v0, vcc, s3, v6
	v_addc_co_u32_e32 v1, vcc, v7, v1, vcc
	global_load_dwordx2 v[2:3], v[0:1], off
	v_mov_b32_e32 v4, s2
	v_add_co_u32_e32 v0, vcc, s3, v0
	v_addc_co_u32_e32 v1, vcc, v1, v4, vcc
	global_load_dwordx2 v[4:5], v[0:1], off
	v_mov_b32_e32 v6, s2
	v_add_co_u32_e32 v0, vcc, s3, v0
	v_addc_co_u32_e32 v1, vcc, v1, v6, vcc
	global_load_dwordx2 v[6:7], v[0:1], off
	v_mov_b32_e32 v24, s2
	v_add_co_u32_e32 v0, vcc, s3, v0
	v_addc_co_u32_e32 v1, vcc, v1, v24, vcc
	global_load_dwordx2 v[24:25], v[0:1], off
	global_load_dwordx2 v[26:27], v90, s[8:9] offset:1760
	global_load_dwordx2 v[28:29], v90, s[8:9] offset:2200
	;; [unrolled: 1-line block ×4, first 2 shown]
	v_mov_b32_e32 v34, s2
	v_add_co_u32_e32 v0, vcc, s3, v0
	v_addc_co_u32_e32 v1, vcc, v1, v34, vcc
	global_load_dwordx2 v[34:35], v[0:1], off
	v_mov_b32_e32 v36, s2
	v_add_co_u32_e32 v0, vcc, s3, v0
	v_addc_co_u32_e32 v1, vcc, v1, v36, vcc
	global_load_dwordx2 v[36:37], v[0:1], off
	global_load_dwordx2 v[38:39], v90, s[8:9] offset:3520
	global_load_dwordx2 v[40:41], v90, s[8:9] offset:3960
	v_mov_b32_e32 v42, s2
	v_add_co_u32_e32 v0, vcc, s3, v0
	v_addc_co_u32_e32 v1, vcc, v1, v42, vcc
	s_movk_i32 s12, 0x1000
	v_add_co_u32_e32 v44, vcc, s12, v44
	v_addc_co_u32_e32 v45, vcc, 0, v45, vcc
	global_load_dwordx2 v[42:43], v[0:1], off
	v_mov_b32_e32 v48, s2
	v_add_co_u32_e32 v0, vcc, s3, v0
	v_addc_co_u32_e32 v1, vcc, v1, v48, vcc
	global_load_dwordx2 v[48:49], v[0:1], off
	v_mov_b32_e32 v50, s2
	;; [unrolled: 4-line block ×3, first 2 shown]
	v_add_co_u32_e32 v0, vcc, s3, v0
	v_addc_co_u32_e32 v1, vcc, v1, v52, vcc
	global_load_dwordx2 v[46:47], v[44:45], off offset:304
	global_load_dwordx2 v[52:53], v[44:45], off offset:744
	global_load_dwordx2 v[54:55], v[0:1], off
	global_load_dwordx2 v[56:57], v[44:45], off offset:1184
	global_load_dwordx2 v[58:59], v[44:45], off offset:1624
	v_mov_b32_e32 v60, s2
	v_add_co_u32_e32 v0, vcc, s3, v0
	v_addc_co_u32_e32 v1, vcc, v1, v60, vcc
	global_load_dwordx2 v[60:61], v[0:1], off
	global_load_dwordx2 v[62:63], v[44:45], off offset:2064
	v_mov_b32_e32 v64, s2
	v_add_co_u32_e32 v0, vcc, s3, v0
	v_addc_co_u32_e32 v1, vcc, v1, v64, vcc
	global_load_dwordx2 v[64:65], v[0:1], off
	;; [unrolled: 5-line block ×3, first 2 shown]
	global_load_dwordx2 v[70:71], v[44:45], off offset:2944
	s_waitcnt vmcnt(29)
	v_mul_f32_e32 v0, v9, v17
	v_mul_f32_e32 v1, v8, v17
	v_fmac_f32_e32 v0, v8, v16
	v_lshl_add_u32 v44, v91, 3, v93
	v_fma_f32 v1, v9, v16, -v1
	ds_write_b64 v44, v[0:1]
	s_waitcnt vmcnt(28)
	v_mul_f32_e32 v0, v11, v19
	v_mul_f32_e32 v1, v10, v19
	s_waitcnt vmcnt(27)
	v_mul_f32_e32 v8, v13, v21
	v_mul_f32_e32 v9, v12, v21
	v_fmac_f32_e32 v0, v10, v18
	v_add_u32_e32 v16, v93, v90
	v_fma_f32 v1, v11, v18, -v1
	v_fmac_f32_e32 v8, v12, v20
	v_fma_f32 v9, v13, v20, -v9
	ds_write2_b64 v16, v[0:1], v[8:9] offset0:55 offset1:110
	s_waitcnt vmcnt(21)
	v_mul_f32_e32 v8, v3, v27
	v_mul_f32_e32 v0, v15, v23
	v_mul_f32_e32 v1, v14, v23
	v_fmac_f32_e32 v8, v2, v26
	v_mul_f32_e32 v2, v2, v27
	v_fmac_f32_e32 v0, v14, v22
	v_fma_f32 v1, v15, v22, -v1
	v_fma_f32 v9, v3, v26, -v2
	ds_write2_b64 v16, v[0:1], v[8:9] offset0:165 offset1:220
	s_waitcnt vmcnt(20)
	v_mul_f32_e32 v0, v5, v29
	v_mul_f32_e32 v1, v4, v29
	s_waitcnt vmcnt(19)
	v_mul_f32_e32 v2, v7, v31
	v_mul_f32_e32 v3, v6, v31
	v_fmac_f32_e32 v0, v4, v28
	v_fma_f32 v1, v5, v28, -v1
	v_fmac_f32_e32 v2, v6, v30
	v_fma_f32 v3, v7, v30, -v3
	v_add_u32_e32 v4, 0x800, v16
	ds_write2_b64 v4, v[0:1], v[2:3] offset0:19 offset1:74
	s_waitcnt vmcnt(18)
	v_mul_f32_e32 v0, v25, v33
	v_mul_f32_e32 v1, v24, v33
	s_waitcnt vmcnt(15)
	v_mul_f32_e32 v2, v35, v39
	v_mul_f32_e32 v3, v34, v39
	v_fmac_f32_e32 v0, v24, v32
	v_fma_f32 v1, v25, v32, -v1
	v_fmac_f32_e32 v2, v34, v38
	v_fma_f32 v3, v35, v38, -v3
	ds_write2_b64 v4, v[0:1], v[2:3] offset0:129 offset1:184
	s_waitcnt vmcnt(14)
	v_mul_f32_e32 v0, v37, v41
	v_mul_f32_e32 v1, v36, v41
	v_fmac_f32_e32 v0, v36, v40
	v_fma_f32 v1, v37, v40, -v1
	v_add_u32_e32 v4, 0xc00, v16
	s_waitcnt vmcnt(10)
	v_mul_f32_e32 v2, v43, v47
	v_mul_f32_e32 v3, v42, v47
	v_fmac_f32_e32 v2, v42, v46
	v_fma_f32 v3, v43, v46, -v3
	ds_write2_b64 v4, v[0:1], v[2:3] offset0:111 offset1:166
	s_waitcnt vmcnt(9)
	v_mul_f32_e32 v0, v49, v53
	v_mul_f32_e32 v1, v48, v53
	s_waitcnt vmcnt(7)
	v_mul_f32_e32 v2, v51, v57
	v_mul_f32_e32 v3, v50, v57
	v_fmac_f32_e32 v0, v48, v52
	v_fma_f32 v1, v49, v52, -v1
	v_fmac_f32_e32 v2, v50, v56
	v_fma_f32 v3, v51, v56, -v3
	v_add_u32_e32 v4, 0x1000, v16
	ds_write2_b64 v4, v[0:1], v[2:3] offset0:93 offset1:148
	s_waitcnt vmcnt(6)
	v_mul_f32_e32 v0, v55, v59
	v_mul_f32_e32 v1, v54, v59
	s_waitcnt vmcnt(4)
	v_mul_f32_e32 v2, v61, v63
	v_mul_f32_e32 v3, v60, v63
	v_fmac_f32_e32 v0, v54, v58
	v_fma_f32 v1, v55, v58, -v1
	v_fmac_f32_e32 v2, v60, v62
	v_fma_f32 v3, v61, v62, -v3
	v_add_u32_e32 v4, 0x1400, v16
	;; [unrolled: 12-line block ×3, first 2 shown]
	ds_write2_b64 v4, v[0:1], v[2:3] offset0:57 offset1:112
.LBB0_3:
	s_or_b64 exec, exec, s[6:7]
	s_load_dwordx2 s[2:3], s[4:5], 0x20
	s_load_dwordx2 s[12:13], s[4:5], 0x8
	v_mov_b32_e32 v8, 0
	v_mov_b32_e32 v9, 0
	s_waitcnt lgkmcnt(0)
	s_barrier
	s_waitcnt lgkmcnt(0)
                                        ; implicit-def: $vgpr14
                                        ; implicit-def: $vgpr16
                                        ; implicit-def: $vgpr32
                                        ; implicit-def: $vgpr36
                                        ; implicit-def: $vgpr4
                                        ; implicit-def: $vgpr30
                                        ; implicit-def: $vgpr26
                                        ; implicit-def: $vgpr22
	s_and_saveexec_b64 s[4:5], s[0:1]
	s_cbranch_execz .LBB0_5
; %bb.4:
	v_lshl_add_u32 v0, v92, 3, v90
	v_add_u32_e32 v1, 0x400, v0
	ds_read2_b64 v[8:11], v0 offset1:55
	ds_read2_b64 v[20:23], v0 offset0:110 offset1:165
	ds_read2_b64 v[24:27], v1 offset0:92 offset1:147
	v_add_u32_e32 v1, 0x800, v0
	ds_read2_b64 v[28:31], v1 offset0:74 offset1:129
	ds_read2_b64 v[12:15], v1 offset0:184 offset1:239
	v_add_u32_e32 v1, 0x1000, v0
	;; [unrolled: 3-line block ×3, first 2 shown]
	ds_read2_b64 v[36:39], v1 offset0:2 offset1:57
	ds_read_b64 v[4:5], v0 offset:7040
.LBB0_5:
	s_or_b64 exec, exec, s[4:5]
	s_waitcnt lgkmcnt(0)
	v_sub_f32_e32 v98, v11, v5
	v_mul_f32_e32 v45, 0xbeb8f4ab, v98
	v_sub_f32_e32 v104, v21, v39
	v_add_f32_e32 v40, v4, v10
	v_sub_f32_e32 v101, v10, v4
	v_mov_b32_e32 v0, v45
	v_mul_f32_e32 v51, 0xbf2c7751, v104
	v_add_f32_e32 v41, v5, v11
	s_mov_b32 s6, 0x3f6eb680
	v_mul_f32_e32 v47, 0xbeb8f4ab, v101
	v_fmac_f32_e32 v0, 0x3f6eb680, v40
	v_add_f32_e32 v42, v38, v20
	v_sub_f32_e32 v107, v20, v38
	v_mov_b32_e32 v44, v51
	v_add_f32_e32 v0, v0, v8
	v_fma_f32 v1, v41, s6, -v47
	s_mov_b32 s7, 0x3f3d2fb0
	v_mul_f32_e32 v49, 0xbf2c7751, v98
	v_add_f32_e32 v43, v39, v21
	v_mul_f32_e32 v53, 0xbf2c7751, v107
	v_fmac_f32_e32 v44, 0x3f3d2fb0, v42
	v_add_f32_e32 v1, v1, v9
	v_mov_b32_e32 v2, v49
	v_add_f32_e32 v0, v44, v0
	v_fma_f32 v44, v43, s7, -v53
	v_mul_f32_e32 v56, 0xbf7ee86f, v104
	v_mul_f32_e32 v52, 0xbf2c7751, v101
	v_fmac_f32_e32 v2, 0x3f3d2fb0, v40
	v_add_f32_e32 v1, v44, v1
	v_mov_b32_e32 v44, v56
	v_add_f32_e32 v2, v2, v8
	v_fma_f32 v3, v41, s7, -v52
	v_mul_f32_e32 v55, 0xbf65296c, v98
	s_mov_b32 s16, 0x3dbcf732
	v_mul_f32_e32 v64, 0xbf7ee86f, v107
	v_fmac_f32_e32 v44, 0x3dbcf732, v42
	v_add_f32_e32 v3, v3, v9
	v_mov_b32_e32 v6, v55
	v_add_f32_e32 v2, v44, v2
	v_fma_f32 v44, v43, s16, -v64
	v_mul_f32_e32 v67, 0xbf4c4adb, v104
	s_mov_b32 s14, 0x3ee437d1
	v_mul_f32_e32 v59, 0xbf65296c, v101
	v_fmac_f32_e32 v6, 0x3ee437d1, v40
	v_add_f32_e32 v3, v44, v3
	v_mov_b32_e32 v44, v67
	v_add_f32_e32 v6, v6, v8
	v_fma_f32 v7, v41, s14, -v59
	s_mov_b32 s17, 0xbf1a4643
	v_mul_f32_e32 v71, 0xbf4c4adb, v107
	v_fmac_f32_e32 v44, 0xbf1a4643, v42
	v_sub_f32_e32 v110, v23, v37
	v_add_f32_e32 v7, v7, v9
	v_add_f32_e32 v6, v44, v6
	v_fma_f32 v44, v43, s17, -v71
	v_mul_f32_e32 v58, 0xbf65296c, v110
	v_add_f32_e32 v7, v44, v7
	v_add_f32_e32 v44, v36, v22
	v_sub_f32_e32 v112, v22, v36
	v_mov_b32_e32 v48, v58
	v_add_f32_e32 v46, v37, v23
	v_mul_f32_e32 v65, 0xbf65296c, v112
	v_fmac_f32_e32 v48, 0x3ee437d1, v44
	v_add_f32_e32 v0, v48, v0
	v_fma_f32 v48, v46, s14, -v65
	v_mul_f32_e32 v68, 0xbf4c4adb, v110
	v_add_f32_e32 v1, v48, v1
	v_mov_b32_e32 v48, v68
	v_mul_f32_e32 v72, 0xbf4c4adb, v112
	v_fmac_f32_e32 v48, 0xbf1a4643, v44
	v_add_f32_e32 v2, v48, v2
	v_fma_f32 v48, v46, s17, -v72
	v_mul_f32_e32 v75, 0x3e3c28d5, v110
	v_add_f32_e32 v3, v48, v3
	v_mov_b32_e32 v48, v75
	s_mov_b32 s18, 0xbf7ba420
	v_mul_f32_e32 v79, 0x3e3c28d5, v112
	v_fmac_f32_e32 v48, 0xbf7ba420, v44
	v_sub_f32_e32 v114, v25, v35
	v_add_f32_e32 v6, v48, v6
	v_fma_f32 v48, v46, s18, -v79
	v_mul_f32_e32 v70, 0xbf7ee86f, v114
	v_add_f32_e32 v7, v48, v7
	v_add_f32_e32 v48, v34, v24
	v_sub_f32_e32 v118, v24, v34
	v_mov_b32_e32 v54, v70
	v_add_f32_e32 v50, v35, v25
	v_mul_f32_e32 v73, 0xbf7ee86f, v118
	v_fmac_f32_e32 v54, 0x3dbcf732, v48
	v_add_f32_e32 v0, v54, v0
	v_fma_f32 v54, v50, s16, -v73
	v_mul_f32_e32 v76, 0xbe3c28d5, v114
	v_add_f32_e32 v1, v54, v1
	v_mov_b32_e32 v54, v76
	v_mul_f32_e32 v80, 0xbe3c28d5, v118
	v_fmac_f32_e32 v54, 0xbf7ba420, v48
	v_add_f32_e32 v2, v54, v2
	v_fma_f32 v54, v50, s18, -v80
	v_mul_f32_e32 v83, 0x3f763a35, v114
	v_add_f32_e32 v3, v54, v3
	v_mov_b32_e32 v54, v83
	s_mov_b32 s15, 0xbe8c1d8e
	v_mul_f32_e32 v95, 0x3f763a35, v118
	v_fmac_f32_e32 v54, 0xbe8c1d8e, v48
	v_sub_f32_e32 v122, v27, v33
	v_add_f32_e32 v6, v54, v6
	v_fma_f32 v54, v50, s15, -v95
	v_mul_f32_e32 v78, 0xbf763a35, v122
	v_add_f32_e32 v7, v54, v7
	v_add_f32_e32 v54, v32, v26
	v_sub_f32_e32 v125, v26, v32
	v_mov_b32_e32 v60, v78
	v_add_f32_e32 v57, v33, v27
	v_mul_f32_e32 v82, 0xbf763a35, v125
	v_fmac_f32_e32 v60, 0xbe8c1d8e, v54
	v_add_f32_e32 v0, v60, v0
	v_fma_f32 v60, v57, s15, -v82
	v_mul_f32_e32 v84, 0x3f06c442, v122
	v_add_f32_e32 v1, v60, v1
	v_mov_b32_e32 v60, v84
	s_mov_b32 s19, 0xbf59a7d5
	v_mul_f32_e32 v96, 0x3f06c442, v125
	v_fmac_f32_e32 v60, 0xbf59a7d5, v54
	v_sub_f32_e32 v128, v29, v19
	v_add_f32_e32 v2, v60, v2
	v_fma_f32 v60, v57, s19, -v96
	v_mul_f32_e32 v86, 0xbf4c4adb, v128
	v_add_f32_e32 v3, v60, v3
	v_add_f32_e32 v66, v18, v28
	v_sub_f32_e32 v135, v28, v18
	v_mov_b32_e32 v60, v86
	v_add_f32_e32 v69, v19, v29
	v_mul_f32_e32 v97, 0xbf4c4adb, v135
	v_fmac_f32_e32 v60, 0xbf1a4643, v66
	v_add_f32_e32 v0, v60, v0
	v_fma_f32 v60, v69, s17, -v97
	v_mul_f32_e32 v99, 0x3f763a35, v128
	v_add_f32_e32 v1, v60, v1
	v_mov_b32_e32 v60, v99
	v_mul_f32_e32 v102, 0x3f763a35, v135
	v_fmac_f32_e32 v60, 0xbe8c1d8e, v66
	v_sub_f32_e32 v142, v31, v17
	v_add_f32_e32 v2, v60, v2
	v_fma_f32 v60, v69, s15, -v102
	v_mul_f32_e32 v100, 0xbf06c442, v142
	v_add_f32_e32 v3, v60, v3
	v_add_f32_e32 v74, v16, v30
	v_sub_f32_e32 v145, v30, v16
	v_mov_b32_e32 v60, v100
	v_add_f32_e32 v77, v17, v31
	v_mul_f32_e32 v103, 0xbf06c442, v145
	v_fmac_f32_e32 v60, 0xbf59a7d5, v74
	v_add_f32_e32 v0, v60, v0
	v_fma_f32 v60, v77, s19, -v103
	v_mul_f32_e32 v105, 0x3f65296c, v142
	v_add_f32_e32 v1, v60, v1
	v_mov_b32_e32 v60, v105
	;; [unrolled: 18-line block ×3, first 2 shown]
	v_mul_f32_e32 v113, 0x3eb8f4ab, v155
	v_fmac_f32_e32 v0, 0x3f6eb680, v81
	v_add_f32_e32 v2, v0, v2
	v_fma_f32 v0, v85, s6, -v113
	v_mul_f32_e32 v115, 0x3f2c7751, v122
	v_add_f32_e32 v3, v0, v3
	v_mov_b32_e32 v0, v115
	v_fmac_f32_e32 v0, 0x3f3d2fb0, v54
	v_mul_f32_e32 v116, 0xbeb8f4ab, v128
	v_add_f32_e32 v0, v0, v6
	v_mul_f32_e32 v120, 0x3f2c7751, v125
	v_mov_b32_e32 v6, v116
	v_fma_f32 v1, v57, s7, -v120
	v_fmac_f32_e32 v6, 0x3f6eb680, v66
	v_mul_f32_e32 v121, 0xbeb8f4ab, v135
	v_add_f32_e32 v1, v1, v7
	v_add_f32_e32 v0, v6, v0
	v_fma_f32 v6, v69, s6, -v121
	v_mul_f32_e32 v117, 0xbf7ee86f, v142
	v_add_f32_e32 v1, v6, v1
	v_mov_b32_e32 v6, v117
	v_fmac_f32_e32 v6, 0x3dbcf732, v74
	v_mul_f32_e32 v123, 0xbf7ee86f, v145
	v_add_f32_e32 v0, v6, v0
	v_fma_f32 v6, v77, s16, -v123
	v_mul_f32_e32 v119, 0xbf06c442, v146
	v_add_f32_e32 v1, v6, v1
	v_mov_b32_e32 v6, v119
	v_fmac_f32_e32 v6, 0xbf59a7d5, v81
	v_mul_f32_e32 v124, 0xbf06c442, v155
	v_add_f32_e32 v0, v6, v0
	v_fma_f32 v6, v85, s19, -v124
	v_mul_f32_e32 v126, 0xbf7ee86f, v98
	v_add_f32_e32 v1, v6, v1
	v_mov_b32_e32 v6, v126
	v_mul_f32_e32 v127, 0xbe3c28d5, v104
	v_fmac_f32_e32 v6, 0x3dbcf732, v40
	v_mov_b32_e32 v7, v127
	v_add_f32_e32 v6, v6, v8
	v_fmac_f32_e32 v7, 0xbf7ba420, v42
	v_mul_f32_e32 v132, 0xbf7ee86f, v101
	v_add_f32_e32 v6, v7, v6
	v_fma_f32 v7, v41, s16, -v132
	v_mul_f32_e32 v133, 0xbe3c28d5, v107
	v_add_f32_e32 v7, v7, v9
	v_fma_f32 v60, v43, s18, -v133
	v_mul_f32_e32 v129, 0x3f763a35, v110
	v_add_f32_e32 v7, v60, v7
	v_mov_b32_e32 v60, v129
	v_fmac_f32_e32 v60, 0xbe8c1d8e, v44
	v_mul_f32_e32 v136, 0x3f763a35, v112
	v_add_f32_e32 v6, v60, v6
	v_fma_f32 v60, v46, s15, -v136
	v_mul_f32_e32 v130, 0x3eb8f4ab, v114
	v_add_f32_e32 v7, v60, v7
	v_mov_b32_e32 v60, v130
	v_fmac_f32_e32 v60, 0x3f6eb680, v48
	;; [unrolled: 7-line block ×6, first 2 shown]
	v_mul_f32_e32 v144, 0x3f2c7751, v155
	v_mul_f32_e32 v147, 0xbf763a35, v98
	v_fma_f32 v61, v85, s7, -v144
	v_add_f32_e32 v62, v60, v6
	v_mov_b32_e32 v6, v147
	v_mul_f32_e32 v148, 0x3f06c442, v104
	v_add_f32_e32 v63, v61, v7
	v_fmac_f32_e32 v6, 0xbe8c1d8e, v40
	v_mov_b32_e32 v7, v148
	v_add_f32_e32 v6, v6, v8
	v_fmac_f32_e32 v7, 0xbf59a7d5, v42
	v_mul_f32_e32 v149, 0x3f2c7751, v110
	v_add_f32_e32 v6, v7, v6
	v_mov_b32_e32 v7, v149
	v_fmac_f32_e32 v7, 0x3f3d2fb0, v44
	v_mul_f32_e32 v150, 0xbf65296c, v114
	v_add_f32_e32 v6, v7, v6
	v_mov_b32_e32 v7, v150
	v_fmac_f32_e32 v7, 0x3ee437d1, v48
	v_mul_f32_e32 v151, 0xbe3c28d5, v122
	v_add_f32_e32 v6, v7, v6
	v_mov_b32_e32 v7, v151
	v_fmac_f32_e32 v7, 0xbf7ba420, v54
	v_mul_f32_e32 v152, 0x3f7ee86f, v128
	v_add_f32_e32 v6, v7, v6
	v_mov_b32_e32 v7, v152
	v_fmac_f32_e32 v7, 0x3dbcf732, v66
	v_mul_f32_e32 v153, 0xbeb8f4ab, v142
	v_add_f32_e32 v6, v7, v6
	v_mov_b32_e32 v7, v153
	v_fmac_f32_e32 v7, 0x3f6eb680, v74
	v_mul_f32_e32 v154, 0xbf4c4adb, v146
	v_add_f32_e32 v6, v7, v6
	v_mov_b32_e32 v7, v154
	v_fmac_f32_e32 v7, 0xbf1a4643, v81
	v_mul_f32_e32 v162, 0xbf763a35, v101
	v_add_f32_e32 v60, v7, v6
	v_fma_f32 v6, v41, s15, -v162
	v_mul_f32_e32 v163, 0x3f06c442, v107
	v_add_f32_e32 v6, v6, v9
	v_fma_f32 v7, v43, s19, -v163
	;; [unrolled: 3-line block ×8, first 2 shown]
	v_mul_f32_e32 v164, 0xbf4c4adb, v98
	v_add_f32_e32 v61, v7, v6
	v_mov_b32_e32 v6, v164
	v_mul_f32_e32 v165, 0x3f763a35, v104
	v_fmac_f32_e32 v6, 0xbf1a4643, v40
	v_mov_b32_e32 v7, v165
	v_add_f32_e32 v6, v6, v8
	v_fmac_f32_e32 v7, 0xbe8c1d8e, v42
	v_mul_f32_e32 v172, 0xbf4c4adb, v101
	v_add_f32_e32 v6, v7, v6
	v_fma_f32 v7, v41, s17, -v172
	v_mul_f32_e32 v173, 0x3f763a35, v107
	v_add_f32_e32 v7, v7, v9
	v_fma_f32 v94, v43, s15, -v173
	v_mul_f32_e32 v166, 0xbeb8f4ab, v110
	v_add_f32_e32 v7, v94, v7
	v_mov_b32_e32 v94, v166
	v_fmac_f32_e32 v94, 0x3f6eb680, v44
	v_mul_f32_e32 v174, 0xbeb8f4ab, v112
	v_add_f32_e32 v6, v94, v6
	v_fma_f32 v94, v46, s6, -v174
	v_mul_f32_e32 v167, 0xbf06c442, v114
	v_add_f32_e32 v7, v94, v7
	v_mov_b32_e32 v94, v167
	v_fmac_f32_e32 v94, 0xbf59a7d5, v48
	;; [unrolled: 7-line block ×5, first 2 shown]
	v_mul_f32_e32 v178, 0xbe3c28d5, v145
	v_add_f32_e32 v6, v94, v6
	v_fma_f32 v94, v77, s18, -v178
	v_mul_f32_e32 v171, 0x3f65296c, v146
	v_add_f32_e32 v7, v94, v7
	v_mov_b32_e32 v94, v171
	v_mul_f32_e32 v179, 0x3f65296c, v155
	v_fmac_f32_e32 v94, 0x3ee437d1, v81
	v_fma_f32 v180, v85, s14, -v179
	v_add_f32_e32 v6, v94, v6
	v_add_f32_e32 v7, v180, v7
	v_mul_lo_u16_e32 v94, 17, v91
	s_barrier
	buffer_store_dword v94, off, s[24:27], 0 ; 4-byte Folded Spill
	s_and_saveexec_b64 s[4:5], s[0:1]
	s_cbranch_execz .LBB0_7
; %bb.6:
	v_mul_f32_e32 v234, 0xbe3c28d5, v101
	v_mov_b32_e32 v180, v234
	v_mul_f32_e32 v235, 0x3eb8f4ab, v107
	v_fmac_f32_e32 v180, 0xbf7ba420, v41
	v_mov_b32_e32 v181, v235
	v_add_f32_e32 v180, v180, v9
	v_fmac_f32_e32 v181, 0x3f6eb680, v43
	v_mul_f32_e32 v236, 0xbf06c442, v112
	v_add_f32_e32 v180, v181, v180
	v_mov_b32_e32 v181, v236
	v_fmac_f32_e32 v181, 0xbf59a7d5, v46
	v_mul_f32_e32 v237, 0x3f2c7751, v118
	v_add_f32_e32 v180, v181, v180
	v_mov_b32_e32 v181, v237
	v_fmac_f32_e32 v181, 0x3f3d2fb0, v50
	v_mul_f32_e32 v238, 0xbf4c4adb, v125
	v_add_f32_e32 v180, v181, v180
	v_mov_b32_e32 v181, v238
	v_fmac_f32_e32 v181, 0xbf1a4643, v57
	v_mul_f32_e32 v239, 0x3f65296c, v135
	v_add_f32_e32 v180, v181, v180
	v_mov_b32_e32 v181, v239
	v_fmac_f32_e32 v181, 0x3ee437d1, v69
	v_mul_f32_e32 v240, 0xbf763a35, v145
	v_add_f32_e32 v180, v181, v180
	v_mov_b32_e32 v181, v240
	v_fmac_f32_e32 v181, 0xbe8c1d8e, v77
	v_mul_f32_e32 v241, 0x3f7ee86f, v155
	v_add_f32_e32 v180, v181, v180
	v_mov_b32_e32 v181, v241
	v_fmac_f32_e32 v181, 0x3dbcf732, v85
	v_mul_f32_e32 v242, 0xbe3c28d5, v98
	v_add_f32_e32 v181, v181, v180
	v_fma_f32 v180, v40, s18, -v242
	v_mul_f32_e32 v243, 0x3eb8f4ab, v104
	v_add_f32_e32 v180, v180, v8
	v_fma_f32 v182, v42, s6, -v243
	;; [unrolled: 3-line block ×8, first 2 shown]
	v_mul_f32_e32 v101, 0xbf06c442, v101
	v_add_f32_e32 v180, v182, v180
	v_mov_b32_e32 v182, v101
	v_mul_f32_e32 v107, 0x3f65296c, v107
	v_fmac_f32_e32 v182, 0xbf59a7d5, v41
	v_mov_b32_e32 v183, v107
	v_add_f32_e32 v182, v182, v9
	v_fmac_f32_e32 v183, 0x3ee437d1, v43
	v_mul_f32_e32 v112, 0xbf7ee86f, v112
	v_add_f32_e32 v182, v183, v182
	v_mov_b32_e32 v183, v112
	v_mul_f32_e32 v250, 0x3f4c4adb, v118
	v_fmac_f32_e32 v183, 0x3dbcf732, v46
	v_mov_b32_e32 v118, v250
	v_add_f32_e32 v182, v183, v182
	v_fmac_f32_e32 v118, 0xbf1a4643, v50
	v_mul_f32_e32 v125, 0xbeb8f4ab, v125
	v_add_f32_e32 v118, v118, v182
	v_mov_b32_e32 v182, v125
	v_fmac_f32_e32 v182, 0x3f6eb680, v57
	v_mul_f32_e32 v135, 0xbe3c28d5, v135
	v_add_f32_e32 v118, v182, v118
	v_mov_b32_e32 v182, v135
	v_mul_f32_e32 v251, 0x3f2c7751, v145
	v_fmac_f32_e32 v182, 0xbf7ba420, v69
	v_mov_b32_e32 v145, v251
	v_add_f32_e32 v118, v182, v118
	v_fmac_f32_e32 v145, 0x3f3d2fb0, v77
	v_mul_f32_e32 v252, 0xbf763a35, v155
	v_add_f32_e32 v118, v145, v118
	v_mov_b32_e32 v145, v252
	v_fmac_f32_e32 v145, 0xbe8c1d8e, v85
	v_mul_f32_e32 v98, 0xbf06c442, v98
	v_add_f32_e32 v183, v145, v118
	v_fma_f32 v118, v40, s19, -v98
	v_mul_f32_e32 v104, 0x3f65296c, v104
	v_add_f32_e32 v118, v118, v8
	v_fma_f32 v145, v42, s14, -v104
	;; [unrolled: 3-line block ×7, first 2 shown]
	v_mul_f32_e32 v254, 0xbf763a35, v146
	v_mul_f32_e32 v195, 0xbf1a4643, v41
	v_add_f32_e32 v118, v128, v118
	v_fma_f32 v128, v81, s15, -v254
	v_mul_f32_e32 v207, 0xbe8c1d8e, v43
	v_add_f32_e32 v182, v128, v118
	v_add_f32_e32 v118, v172, v195
	v_mul_f32_e32 v219, 0x3f6eb680, v46
	v_add_f32_e32 v128, v173, v207
	v_add_f32_e32 v118, v118, v9
	v_mul_f32_e32 v194, 0xbf1a4643, v40
	v_mul_f32_e32 v231, 0xbf59a7d5, v50
	v_add_f32_e32 v118, v128, v118
	v_add_f32_e32 v128, v174, v219
	v_mul_f32_e32 v206, 0xbe8c1d8e, v42
	v_add_f32_e32 v118, v128, v118
	v_add_f32_e32 v145, v175, v231
	v_sub_f32_e32 v164, v194, v164
	v_mul_f32_e32 v218, 0x3f6eb680, v44
	v_add_f32_e32 v118, v145, v118
	v_mul_f32_e32 v145, 0x3dbcf732, v57
	v_sub_f32_e32 v165, v206, v165
	v_add_f32_e32 v164, v164, v8
	v_mul_f32_e32 v230, 0xbf59a7d5, v48
	v_add_f32_e32 v145, v176, v145
	v_add_f32_e32 v164, v165, v164
	v_sub_f32_e32 v166, v218, v166
	v_mul_f32_e32 v189, 0x3ee437d1, v41
	v_mul_f32_e32 v146, 0x3dbcf732, v54
	v_add_f32_e32 v118, v145, v118
	v_mul_f32_e32 v145, 0x3f3d2fb0, v69
	v_add_f32_e32 v164, v166, v164
	v_sub_f32_e32 v167, v230, v167
	v_mul_f32_e32 v201, 0xbf1a4643, v43
	v_add_f32_e32 v145, v177, v145
	v_add_f32_e32 v164, v167, v164
	v_sub_f32_e32 v146, v146, v168
	v_mul_f32_e32 v168, 0x3f3d2fb0, v66
	v_add_f32_e32 v59, v59, v189
	v_mul_f32_e32 v213, 0xbf7ba420, v46
	v_add_f32_e32 v118, v145, v118
	;; [unrolled: 2-line block ×3, first 2 shown]
	v_sub_f32_e32 v168, v168, v169
	v_add_f32_e32 v59, v59, v9
	v_add_f32_e32 v71, v71, v201
	v_mul_f32_e32 v225, 0xbe8c1d8e, v50
	v_add_f32_e32 v145, v178, v145
	v_add_f32_e32 v146, v168, v146
	v_mul_f32_e32 v168, 0xbf7ba420, v74
	;; [unrolled: 3-line block ×3, first 2 shown]
	v_add_f32_e32 v118, v145, v118
	v_mul_f32_e32 v145, 0x3ee437d1, v85
	v_sub_f32_e32 v168, v168, v170
	v_add_f32_e32 v59, v71, v59
	v_add_f32_e32 v71, v95, v225
	;; [unrolled: 1-line block ×3, first 2 shown]
	v_mul_f32_e32 v165, 0x3f6eb680, v69
	v_add_f32_e32 v168, v168, v146
	v_mul_f32_e32 v146, 0x3ee437d1, v81
	v_add_f32_e32 v59, v71, v59
	v_add_f32_e32 v71, v120, v173
	v_mul_f32_e32 v167, 0x3dbcf732, v69
	v_sub_f32_e32 v171, v146, v171
	v_add_f32_e32 v146, v145, v118
	v_mul_f32_e32 v118, 0x3dbcf732, v77
	v_add_f32_e32 v59, v71, v59
	v_add_f32_e32 v71, v121, v165
	v_mul_f32_e32 v188, 0x3ee437d1, v40
	v_add_f32_e32 v158, v158, v167
	v_mul_f32_e32 v167, 0xbf59a7d5, v85
	v_add_f32_e32 v59, v71, v59
	v_add_f32_e32 v71, v123, v118
	v_mul_f32_e32 v193, 0xbe8c1d8e, v41
	v_mul_f32_e32 v200, 0xbf1a4643, v42
	v_add_f32_e32 v59, v71, v59
	v_add_f32_e32 v71, v124, v167
	v_sub_f32_e32 v55, v188, v55
	v_mul_f32_e32 v205, 0xbf59a7d5, v43
	v_mul_f32_e32 v212, 0xbf7ba420, v44
	v_add_f32_e32 v162, v162, v193
	v_add_f32_e32 v118, v71, v59
	v_add_f32_e32 v55, v55, v8
	v_sub_f32_e32 v59, v200, v67
	v_mul_f32_e32 v217, 0x3f3d2fb0, v46
	v_mul_f32_e32 v224, 0xbe8c1d8e, v48
	v_add_f32_e32 v163, v163, v205
	;; [unrolled: 6-line block ×4, first 2 shown]
	v_add_f32_e32 v160, v160, v229
	v_add_f32_e32 v55, v59, v55
	v_sub_f32_e32 v59, v172, v115
	v_add_f32_e32 v145, v171, v168
	v_mul_f32_e32 v168, 0x3dbcf732, v74
	v_add_f32_e32 v160, v160, v161
	v_add_f32_e32 v155, v159, v155
	v_add_f32_e32 v55, v59, v55
	v_sub_f32_e32 v59, v179, v116
	v_mul_f32_e32 v187, 0x3f3d2fb0, v41
	v_add_f32_e32 v155, v155, v160
	v_mul_f32_e32 v160, 0xbf59a7d5, v81
	v_add_f32_e32 v55, v59, v55
	v_sub_f32_e32 v59, v168, v117
	v_mul_f32_e32 v199, 0x3dbcf732, v43
	v_add_f32_e32 v55, v59, v55
	v_sub_f32_e32 v59, v160, v119
	v_add_f32_e32 v52, v52, v187
	v_add_f32_e32 v10, v10, v8
	v_mul_f32_e32 v211, 0xbf1a4643, v46
	v_add_f32_e32 v117, v59, v55
	v_add_f32_e32 v52, v52, v9
	;; [unrolled: 1-line block ×5, first 2 shown]
	v_mul_f32_e32 v223, 0xbf7ba420, v50
	v_add_f32_e32 v52, v55, v52
	v_add_f32_e32 v55, v72, v211
	v_add_f32_e32 v11, v21, v11
	v_add_f32_e32 v10, v22, v10
	v_mul_f32_e32 v94, 0xbf59a7d5, v57
	v_add_f32_e32 v52, v55, v52
	v_add_f32_e32 v55, v80, v223
	v_add_f32_e32 v11, v23, v11
	v_add_f32_e32 v10, v24, v10
	;; [unrolled: 5-line block ×4, first 2 shown]
	v_mul_f32_e32 v186, 0x3f3d2fb0, v40
	v_mul_f32_e32 v159, 0x3f6eb680, v85
	v_add_f32_e32 v52, v55, v52
	v_add_f32_e32 v55, v108, v207
	;; [unrolled: 1-line block ×4, first 2 shown]
	v_mul_f32_e32 v198, 0x3dbcf732, v42
	v_add_f32_e32 v52, v55, v52
	v_add_f32_e32 v55, v113, v159
	v_sub_f32_e32 v49, v186, v49
	v_add_f32_e32 v11, v31, v11
	v_add_f32_e32 v10, v12, v10
	v_mul_f32_e32 v210, 0xbf1a4643, v44
	v_add_f32_e32 v72, v55, v52
	v_add_f32_e32 v49, v49, v8
	v_sub_f32_e32 v52, v198, v56
	v_add_f32_e32 v11, v13, v11
	v_add_f32_e32 v10, v14, v10
	v_mul_f32_e32 v222, 0xbf7ba420, v48
	v_add_f32_e32 v49, v52, v49
	v_sub_f32_e32 v52, v210, v68
	v_add_f32_e32 v11, v15, v11
	v_add_f32_e32 v10, v16, v10
	v_mul_f32_e32 v255, 0xbf59a7d5, v54
	;; [unrolled: 5-line block ×3, first 2 shown]
	v_mul_f32_e32 v177, 0xbe8c1d8e, v66
	v_add_f32_e32 v49, v52, v49
	v_sub_f32_e32 v52, v255, v84
	v_add_f32_e32 v11, v19, v11
	v_add_f32_e32 v10, v32, v10
	v_mul_f32_e32 v204, 0xbf59a7d5, v42
	v_mul_f32_e32 v170, 0x3ee437d1, v74
	v_sub_f32_e32 v147, v192, v147
	v_add_f32_e32 v49, v52, v49
	v_sub_f32_e32 v52, v177, v99
	v_add_f32_e32 v11, v33, v11
	v_add_f32_e32 v10, v34, v10
	v_mul_f32_e32 v185, 0x3f6eb680, v41
	v_mul_f32_e32 v216, 0x3f3d2fb0, v44
	;; [unrolled: 1-line block ×3, first 2 shown]
	v_add_f32_e32 v147, v147, v8
	v_sub_f32_e32 v148, v204, v148
	v_add_f32_e32 v49, v52, v49
	v_sub_f32_e32 v52, v170, v105
	v_add_f32_e32 v11, v35, v11
	v_add_f32_e32 v10, v36, v10
	v_mul_f32_e32 v197, 0x3f3d2fb0, v43
	v_mul_f32_e32 v228, 0x3ee437d1, v48
	v_add_f32_e32 v147, v148, v147
	v_sub_f32_e32 v148, v216, v149
	v_add_f32_e32 v49, v52, v49
	v_sub_f32_e32 v52, v161, v111
	v_add_f32_e32 v47, v47, v185
	v_add_f32_e32 v11, v37, v11
	v_add_f32_e32 v10, v38, v10
	v_mul_f32_e32 v209, 0x3ee437d1, v46
	v_mul_f32_e32 v128, 0xbf7ba420, v54
	;; [unrolled: 1-line block ×3, first 2 shown]
	v_add_f32_e32 v147, v148, v147
	v_sub_f32_e32 v148, v228, v150
	v_add_f32_e32 v71, v52, v49
	v_add_f32_e32 v47, v47, v9
	;; [unrolled: 1-line block ×5, first 2 shown]
	v_fma_f32 v10, v41, s18, -v234
	v_mul_f32_e32 v221, 0x3dbcf732, v50
	v_mul_f32_e32 v206, 0x3dbcf732, v66
	v_add_f32_e32 v155, v158, v155
	v_add_f32_e32 v157, v157, v205
	;; [unrolled: 1-line block ×3, first 2 shown]
	v_sub_f32_e32 v128, v128, v151
	v_add_f32_e32 v47, v49, v47
	v_add_f32_e32 v49, v65, v209
	;; [unrolled: 1-line block ×4, first 2 shown]
	v_fma_f32 v11, v43, s6, -v235
	v_mul_f32_e32 v233, 0xbe8c1d8e, v57
	v_mul_f32_e32 v163, 0x3f6eb680, v74
	v_add_f32_e32 v155, v157, v155
	v_mul_f32_e32 v157, 0xbf1a4643, v85
	v_add_f32_e32 v128, v128, v147
	v_sub_f32_e32 v147, v206, v152
	v_add_f32_e32 v47, v49, v47
	v_add_f32_e32 v49, v73, v221
	;; [unrolled: 1-line block ×3, first 2 shown]
	v_fma_f32 v11, v46, s19, -v236
	v_mul_f32_e32 v176, 0xbf1a4643, v69
	v_add_f32_e32 v156, v156, v157
	v_mul_f32_e32 v157, 0xbf1a4643, v81
	v_add_f32_e32 v128, v147, v128
	v_sub_f32_e32 v147, v163, v153
	v_add_f32_e32 v47, v49, v47
	v_add_f32_e32 v49, v82, v233
	;; [unrolled: 1-line block ×3, first 2 shown]
	v_fma_f32 v11, v50, s7, -v237
	v_mul_f32_e32 v191, 0x3dbcf732, v41
	v_mul_f32_e32 v169, 0xbf59a7d5, v77
	v_add_f32_e32 v128, v147, v128
	v_sub_f32_e32 v147, v157, v154
	v_add_f32_e32 v47, v49, v47
	v_add_f32_e32 v49, v97, v176
	;; [unrolled: 1-line block ×3, first 2 shown]
	v_fma_f32 v11, v57, s17, -v238
	v_mul_f32_e32 v184, 0x3f6eb680, v40
	v_mul_f32_e32 v217, 0xbf7ba420, v85
	v_add_f32_e32 v154, v147, v128
	v_add_f32_e32 v128, v132, v191
	;; [unrolled: 1-line block ×5, first 2 shown]
	v_fma_f32 v11, v69, s14, -v239
	v_fma_f32 v12, v41, s19, -v101
	v_mul_f32_e32 v190, 0x3dbcf732, v40
	v_mul_f32_e32 v196, 0x3f3d2fb0, v42
	v_add_f32_e32 v128, v128, v9
	v_add_f32_e32 v47, v49, v47
	;; [unrolled: 1-line block ×3, first 2 shown]
	v_sub_f32_e32 v45, v184, v45
	v_add_f32_e32 v10, v11, v10
	v_fma_f32 v11, v77, s15, -v240
	v_add_f32_e32 v9, v12, v9
	v_fma_f32 v12, v43, s14, -v107
	v_mul_f32_e32 v202, 0xbf7ba420, v42
	v_mul_f32_e32 v203, 0xbf7ba420, v43
	;; [unrolled: 1-line block ×3, first 2 shown]
	v_sub_f32_e32 v126, v190, v126
	v_add_f32_e32 v52, v49, v47
	v_add_f32_e32 v45, v45, v8
	v_sub_f32_e32 v47, v196, v51
	v_add_f32_e32 v10, v11, v10
	v_fma_f32 v11, v85, s16, -v241
	v_fmac_f32_e32 v242, 0xbf7ba420, v40
	v_add_f32_e32 v9, v12, v9
	v_fma_f32 v12, v46, s16, -v112
	v_fmac_f32_e32 v98, 0xbf59a7d5, v40
	v_mul_f32_e32 v214, 0xbe8c1d8e, v44
	v_mul_f32_e32 v215, 0xbe8c1d8e, v46
	;; [unrolled: 1-line block ×3, first 2 shown]
	v_add_f32_e32 v132, v133, v203
	v_add_f32_e32 v126, v126, v8
	v_sub_f32_e32 v127, v202, v127
	v_add_f32_e32 v45, v47, v45
	v_sub_f32_e32 v47, v208, v58
	v_add_f32_e32 v11, v11, v10
	v_add_f32_e32 v10, v242, v8
	v_fmac_f32_e32 v243, 0x3f6eb680, v42
	v_add_f32_e32 v9, v12, v9
	v_fma_f32 v12, v50, s17, -v250
	v_add_f32_e32 v8, v98, v8
	v_fmac_f32_e32 v104, 0x3ee437d1, v42
	v_mul_f32_e32 v226, 0x3f6eb680, v48
	v_mul_f32_e32 v227, 0x3f6eb680, v50
	v_mul_f32_e32 v232, 0xbe8c1d8e, v54
	v_add_f32_e32 v128, v132, v128
	v_add_f32_e32 v132, v136, v215
	v_add_f32_e32 v126, v127, v126
	v_sub_f32_e32 v127, v214, v129
	v_add_f32_e32 v45, v47, v45
	v_sub_f32_e32 v47, v220, v70
	v_add_f32_e32 v10, v243, v10
	v_fmac_f32_e32 v244, 0xbf59a7d5, v44
	v_add_f32_e32 v9, v12, v9
	v_fma_f32 v12, v57, s6, -v125
	v_add_f32_e32 v8, v104, v8
	v_fmac_f32_e32 v110, 0x3dbcf732, v44
	v_mul_f32_e32 v195, 0x3ee437d1, v54
	v_mul_f32_e32 v174, 0x3ee437d1, v57
	v_mul_f32_e32 v175, 0xbf1a4643, v66
	v_add_f32_e32 v128, v132, v128
	v_add_f32_e32 v132, v138, v227
	v_add_f32_e32 v126, v127, v126
	v_sub_f32_e32 v127, v226, v130
	v_add_f32_e32 v45, v47, v45
	v_sub_f32_e32 v47, v232, v78
	;; [unrolled: 15-line block ×4, first 2 shown]
	v_add_f32_e32 v10, v246, v10
	v_fmac_f32_e32 v247, 0x3ee437d1, v66
	v_add_f32_e32 v9, v12, v9
	v_fma_f32 v12, v85, s15, -v252
	v_add_f32_e32 v8, v122, v8
	v_fmac_f32_e32 v253, 0xbf7ba420, v66
	v_mul_f32_e32 v158, 0x3f3d2fb0, v81
	v_mul_f32_e32 v205, 0x3f3d2fb0, v85
	v_add_f32_e32 v128, v132, v128
	v_add_f32_e32 v132, v143, v193
	;; [unrolled: 1-line block ×3, first 2 shown]
	v_sub_f32_e32 v127, v171, v137
	v_add_f32_e32 v45, v47, v45
	v_sub_f32_e32 v47, v162, v106
	v_add_f32_e32 v10, v247, v10
	v_fmac_f32_e32 v248, 0xbe8c1d8e, v74
	v_add_f32_e32 v9, v12, v9
	v_add_f32_e32 v8, v253, v8
	v_fmac_f32_e32 v142, 0x3f3d2fb0, v74
	v_mul_lo_u16_e32 v12, 17, v91
	v_add_f32_e32 v128, v132, v128
	v_add_f32_e32 v132, v144, v205
	;; [unrolled: 1-line block ×3, first 2 shown]
	v_sub_f32_e32 v127, v158, v139
	v_add_f32_e32 v51, v47, v45
	v_add_f32_e32 v10, v248, v10
	v_fmac_f32_e32 v249, 0x3dbcf732, v81
	v_add_f32_e32 v8, v142, v8
	v_fmac_f32_e32 v254, 0xbe8c1d8e, v81
	v_add_lshl_u32 v12, v92, v12, 3
	v_add_f32_e32 v155, v156, v155
	v_add_f32_e32 v128, v132, v128
	;; [unrolled: 1-line block ×5, first 2 shown]
	ds_write2_b64 v12, v[4:5], v[51:52] offset1:1
	ds_write2_b64 v12, v[71:72], v[117:118] offset0:2 offset1:3
	ds_write2_b64 v12, v[127:128], v[154:155] offset0:4 offset1:5
	;; [unrolled: 1-line block ×7, first 2 shown]
	ds_write_b64 v12, v[88:89] offset:128
.LBB0_7:
	s_or_b64 exec, exec, s[4:5]
	s_load_dwordx4 s[4:7], s[2:3], 0x0
	s_movk_i32 s2, 0xf1
	v_mul_lo_u16_sdwa v4, v91, s2 dst_sel:DWORD dst_unused:UNUSED_PAD src0_sel:BYTE_0 src1_sel:DWORD
	v_lshrrev_b16_e32 v15, 12, v4
	v_mul_lo_u16_e32 v4, 17, v15
	v_sub_u16_e32 v52, v91, v4
	v_mov_b32_e32 v4, 10
	v_mul_u32_u24_sdwa v4, v52, v4 dst_sel:DWORD dst_unused:UNUSED_PAD src0_sel:BYTE_0 src1_sel:DWORD
	v_lshlrev_b32_e32 v4, 3, v4
	s_waitcnt vmcnt(0) lgkmcnt(0)
	s_barrier
	global_load_dwordx4 v[28:31], v4, s[12:13]
	global_load_dwordx4 v[24:27], v4, s[12:13] offset:16
	global_load_dwordx4 v[20:23], v4, s[12:13] offset:32
	global_load_dwordx4 v[16:19], v4, s[12:13] offset:48
	global_load_dwordx4 v[32:35], v4, s[12:13] offset:64
	v_add_lshl_u32 v95, v92, v91, 3
	ds_read2_b64 v[9:12], v95 offset1:85
	ds_read2_b64 v[36:39], v95 offset0:170 offset1:255
	v_add_u32_e32 v53, 0x800, v95
	v_add_u32_e32 v13, 0xc00, v95
	;; [unrolled: 1-line block ×3, first 2 shown]
	ds_read_b64 v[4:5], v95 offset:6800
	ds_read2_b64 v[40:43], v53 offset0:84 offset1:169
	ds_read2_b64 v[44:47], v13 offset0:126 offset1:211
	;; [unrolled: 1-line block ×3, first 2 shown]
	s_mov_b32 s2, 0x3f575c64
	s_mov_b32 s3, 0x3ed4b147
	;; [unrolled: 1-line block ×5, first 2 shown]
	v_mul_u32_u24_e32 v15, 0xbb, v15
	v_add_u32_sdwa v15, v15, v52 dst_sel:DWORD dst_unused:UNUSED_PAD src0_sel:DWORD src1_sel:BYTE_0
	v_add_lshl_u32 v96, v92, v15, 3
	s_waitcnt vmcnt(0) lgkmcnt(0)
	s_barrier
	v_mul_f32_e32 v13, v12, v29
	v_mul_f32_e32 v14, v11, v29
	;; [unrolled: 1-line block ×3, first 2 shown]
	v_fma_f32 v11, v11, v28, -v13
	v_mul_f32_e32 v75, v4, v35
	v_mul_f32_e32 v55, v36, v31
	;; [unrolled: 1-line block ×4, first 2 shown]
	v_fmac_f32_e32 v14, v12, v28
	v_fma_f32 v13, v36, v30, -v54
	v_fmac_f32_e32 v75, v5, v34
	v_add_f32_e32 v5, v9, v11
	v_mul_f32_e32 v57, v38, v25
	v_mul_f32_e32 v58, v41, v27
	v_mul_f32_e32 v65, v42, v21
	v_mul_f32_e32 v67, v44, v23
	v_fmac_f32_e32 v55, v37, v30
	v_fma_f32 v36, v38, v24, -v56
	v_fma_f32 v4, v4, v34, -v74
	v_add_f32_e32 v12, v10, v14
	v_add_f32_e32 v5, v5, v13
	v_mul_f32_e32 v59, v40, v27
	v_mul_f32_e32 v64, v43, v21
	;; [unrolled: 1-line block ×3, first 2 shown]
	v_fmac_f32_e32 v57, v39, v24
	v_fma_f32 v37, v40, v26, -v58
	v_fmac_f32_e32 v65, v43, v20
	v_fmac_f32_e32 v67, v45, v22
	v_add_f32_e32 v43, v11, v4
	v_sub_f32_e32 v45, v11, v4
	v_add_f32_e32 v11, v12, v55
	v_add_f32_e32 v5, v5, v36
	v_fmac_f32_e32 v59, v41, v26
	v_fma_f32 v38, v42, v20, -v64
	v_add_f32_e32 v11, v11, v57
	v_add_f32_e32 v5, v5, v37
	v_mul_f32_e32 v68, v47, v17
	v_fma_f32 v39, v44, v22, -v66
	v_add_f32_e32 v11, v11, v59
	v_add_f32_e32 v5, v5, v38
	v_mul_f32_e32 v69, v46, v17
	v_mul_f32_e32 v70, v49, v19
	v_fma_f32 v40, v46, v16, -v68
	v_add_f32_e32 v11, v11, v65
	v_add_f32_e32 v5, v5, v39
	v_mul_f32_e32 v71, v48, v19
	v_mul_f32_e32 v72, v51, v33
	v_fmac_f32_e32 v69, v47, v16
	v_fma_f32 v41, v48, v18, -v70
	v_add_f32_e32 v44, v14, v75
	v_sub_f32_e32 v14, v14, v75
	v_add_f32_e32 v11, v11, v67
	v_add_f32_e32 v5, v5, v40
	v_mul_f32_e32 v73, v50, v33
	v_fmac_f32_e32 v71, v49, v18
	v_fma_f32 v42, v50, v32, -v72
	v_mul_f32_e32 v46, 0xbf0a6770, v14
	v_add_f32_e32 v11, v11, v69
	v_add_f32_e32 v5, v5, v41
	v_fmac_f32_e32 v73, v51, v32
	v_fma_f32 v12, v43, s2, -v46
	v_add_f32_e32 v11, v11, v71
	v_add_f32_e32 v5, v5, v42
	v_fmac_f32_e32 v46, 0x3f575c64, v43
	v_mul_f32_e32 v47, 0xbf0a6770, v45
	v_add_f32_e32 v49, v9, v12
	v_add_f32_e32 v12, v11, v73
	;; [unrolled: 1-line block ×4, first 2 shown]
	v_mul_f32_e32 v46, 0xbf68dda4, v14
	v_mul_f32_e32 v50, 0xbf68dda4, v45
	;; [unrolled: 1-line block ×8, first 2 shown]
	v_mov_b32_e32 v48, v47
	v_add_f32_e32 v12, v12, v75
	v_fma_f32 v5, v44, s2, -v47
	v_fma_f32 v47, v43, s3, -v46
	v_mov_b32_e32 v51, v50
	v_fmac_f32_e32 v46, 0x3ed4b147, v43
	v_fma_f32 v56, v43, s14, -v54
	v_mov_b32_e32 v64, v58
	v_fmac_f32_e32 v54, 0xbe11bafb, v43
	;; [unrolled: 3-line block ×4, first 2 shown]
	v_fmac_f32_e32 v48, 0x3f575c64, v44
	v_add_f32_e32 v47, v9, v47
	v_fmac_f32_e32 v51, 0x3ed4b147, v44
	v_add_f32_e32 v46, v9, v46
	v_fma_f32 v50, v44, s3, -v50
	v_add_f32_e32 v56, v9, v56
	v_fmac_f32_e32 v64, 0xbe11bafb, v44
	v_add_f32_e32 v54, v9, v54
	v_fma_f32 v58, v44, s14, -v58
	;; [unrolled: 4-line block ×4, first 2 shown]
	v_add_f32_e32 v48, v10, v48
	v_add_f32_e32 v5, v10, v5
	;; [unrolled: 1-line block ×11, first 2 shown]
	v_sub_f32_e32 v13, v13, v42
	v_sub_f32_e32 v42, v55, v73
	v_mul_f32_e32 v44, 0xbf68dda4, v42
	v_fma_f32 v45, v14, s3, -v44
	v_add_f32_e32 v43, v55, v73
	v_add_f32_e32 v45, v45, v49
	v_mul_f32_e32 v49, 0xbf68dda4, v13
	v_fmac_f32_e32 v44, 0x3ed4b147, v14
	v_add_f32_e32 v4, v44, v4
	v_fma_f32 v44, v43, s3, -v49
	v_add_f32_e32 v5, v44, v5
	v_mul_f32_e32 v44, 0xbf4178ce, v42
	v_mov_b32_e32 v55, v49
	v_fma_f32 v49, v14, s15, -v44
	v_fmac_f32_e32 v55, 0x3ed4b147, v43
	v_add_f32_e32 v47, v49, v47
	v_mul_f32_e32 v49, 0xbf4178ce, v13
	v_add_f32_e32 v48, v55, v48
	v_mov_b32_e32 v55, v49
	v_fmac_f32_e32 v44, 0xbf27a4f4, v14
	v_fmac_f32_e32 v55, 0xbf27a4f4, v43
	v_add_f32_e32 v44, v44, v46
	v_fma_f32 v46, v43, s15, -v49
	v_mul_f32_e32 v49, 0x3e903f40, v42
	v_add_f32_e32 v51, v55, v51
	v_add_f32_e32 v46, v46, v50
	v_fma_f32 v50, v14, s16, -v49
	v_mul_f32_e32 v55, 0x3e903f40, v13
	v_add_f32_e32 v50, v50, v56
	v_mov_b32_e32 v56, v55
	v_fmac_f32_e32 v49, 0xbf75a155, v14
	v_fmac_f32_e32 v56, 0xbf75a155, v43
	v_add_f32_e32 v49, v49, v54
	v_fma_f32 v54, v43, s16, -v55
	v_mul_f32_e32 v55, 0x3f7d64f0, v42
	v_add_f32_e32 v56, v56, v64
	v_add_f32_e32 v54, v54, v58
	v_fma_f32 v58, v14, s14, -v55
	v_mul_f32_e32 v64, 0x3f7d64f0, v13
	v_add_f32_e32 v58, v58, v68
	v_mov_b32_e32 v68, v64
	v_fma_f32 v64, v43, s14, -v64
	v_mul_f32_e32 v13, 0x3f0a6770, v13
	v_fmac_f32_e32 v55, 0xbe11bafb, v14
	v_add_f32_e32 v64, v64, v70
	v_mul_f32_e32 v42, 0x3f0a6770, v42
	v_mov_b32_e32 v70, v13
	v_fma_f32 v13, v43, s2, -v13
	v_add_f32_e32 v55, v55, v66
	v_fma_f32 v66, v14, s2, -v42
	v_fmac_f32_e32 v42, 0x3f575c64, v14
	v_add_f32_e32 v10, v13, v10
	v_add_f32_e32 v13, v36, v41
	v_sub_f32_e32 v36, v36, v41
	v_sub_f32_e32 v41, v57, v71
	v_add_f32_e32 v9, v42, v9
	v_mul_f32_e32 v42, 0xbf7d64f0, v41
	v_fmac_f32_e32 v68, 0xbe11bafb, v43
	v_fmac_f32_e32 v70, 0x3f575c64, v43
	v_fma_f32 v43, v13, s14, -v42
	v_add_f32_e32 v14, v57, v71
	v_add_f32_e32 v43, v43, v45
	v_mul_f32_e32 v45, 0xbf7d64f0, v36
	v_fmac_f32_e32 v42, 0xbe11bafb, v13
	v_add_f32_e32 v4, v42, v4
	v_fma_f32 v42, v14, s14, -v45
	v_add_f32_e32 v5, v42, v5
	v_mul_f32_e32 v42, 0x3e903f40, v41
	v_mov_b32_e32 v57, v45
	v_fma_f32 v45, v13, s16, -v42
	v_add_f32_e32 v45, v45, v47
	v_mul_f32_e32 v47, 0x3e903f40, v36
	v_fmac_f32_e32 v42, 0xbf75a155, v13
	v_add_f32_e32 v42, v42, v44
	v_fma_f32 v44, v14, s16, -v47
	v_fmac_f32_e32 v57, 0xbe11bafb, v14
	v_add_f32_e32 v44, v44, v46
	v_mul_f32_e32 v46, 0x3f68dda4, v41
	v_add_f32_e32 v48, v57, v48
	v_mov_b32_e32 v57, v47
	v_fma_f32 v47, v13, s3, -v46
	v_fmac_f32_e32 v57, 0xbf75a155, v14
	v_add_f32_e32 v47, v47, v50
	v_mul_f32_e32 v50, 0x3f68dda4, v36
	v_add_f32_e32 v51, v57, v51
	v_mov_b32_e32 v57, v50
	v_fmac_f32_e32 v46, 0x3ed4b147, v13
	v_fmac_f32_e32 v57, 0x3ed4b147, v14
	v_add_f32_e32 v46, v46, v49
	v_fma_f32 v49, v14, s3, -v50
	v_mul_f32_e32 v50, 0xbf0a6770, v41
	v_add_f32_e32 v56, v57, v56
	v_add_f32_e32 v49, v49, v54
	v_fma_f32 v54, v13, s2, -v50
	v_mul_f32_e32 v57, 0xbf0a6770, v36
	v_fmac_f32_e32 v50, 0x3f575c64, v13
	v_mul_f32_e32 v41, 0xbf4178ce, v41
	v_mul_f32_e32 v36, 0xbf4178ce, v36
	v_add_f32_e32 v54, v54, v58
	v_mov_b32_e32 v58, v57
	v_add_f32_e32 v50, v50, v55
	v_fma_f32 v55, v14, s2, -v57
	v_fma_f32 v57, v13, s15, -v41
	v_fmac_f32_e32 v41, 0xbf27a4f4, v13
	v_fma_f32 v13, v14, s15, -v36
	v_add_f32_e32 v55, v55, v64
	v_mov_b32_e32 v64, v36
	v_add_f32_e32 v10, v13, v10
	v_add_f32_e32 v13, v37, v40
	v_sub_f32_e32 v36, v37, v40
	v_sub_f32_e32 v37, v59, v69
	v_mul_f32_e32 v40, 0xbf4178ce, v37
	v_add_f32_e32 v9, v41, v9
	v_fma_f32 v41, v13, s15, -v40
	v_fmac_f32_e32 v58, 0x3f575c64, v14
	v_fmac_f32_e32 v64, 0xbf27a4f4, v14
	v_add_f32_e32 v14, v59, v69
	v_add_f32_e32 v41, v41, v43
	v_mul_f32_e32 v43, 0xbf4178ce, v36
	v_fmac_f32_e32 v40, 0xbf27a4f4, v13
	v_add_f32_e32 v4, v40, v4
	v_fma_f32 v40, v14, s15, -v43
	v_add_f32_e32 v5, v40, v5
	v_mul_f32_e32 v40, 0x3f7d64f0, v37
	v_mov_b32_e32 v59, v43
	v_fma_f32 v43, v13, s14, -v40
	v_add_f32_e32 v43, v43, v45
	v_mul_f32_e32 v45, 0x3f7d64f0, v36
	v_fmac_f32_e32 v40, 0xbe11bafb, v13
	v_add_f32_e32 v40, v40, v42
	v_fma_f32 v42, v14, s14, -v45
	v_fmac_f32_e32 v59, 0xbf27a4f4, v14
	v_add_f32_e32 v42, v42, v44
	v_mul_f32_e32 v44, 0xbf0a6770, v37
	v_add_f32_e32 v48, v59, v48
	v_mov_b32_e32 v59, v45
	v_fma_f32 v45, v13, s2, -v44
	v_fmac_f32_e32 v59, 0xbe11bafb, v14
	v_add_f32_e32 v45, v45, v47
	v_mul_f32_e32 v47, 0xbf0a6770, v36
	v_fmac_f32_e32 v44, 0x3f575c64, v13
	v_add_f32_e32 v51, v59, v51
	v_mov_b32_e32 v59, v47
	v_add_f32_e32 v44, v44, v46
	v_fma_f32 v46, v14, s2, -v47
	v_mul_f32_e32 v47, 0xbe903f40, v37
	v_add_f32_e32 v46, v46, v49
	v_fma_f32 v49, v13, s16, -v47
	v_add_f32_e32 v49, v49, v54
	v_mul_f32_e32 v54, 0xbe903f40, v36
	v_fmac_f32_e32 v47, 0xbf75a155, v13
	v_add_f32_e32 v47, v47, v50
	v_fma_f32 v50, v14, s16, -v54
	v_mul_f32_e32 v36, 0x3f68dda4, v36
	v_add_f32_e32 v66, v66, v74
	v_add_f32_e32 v70, v70, v75
	v_fmac_f32_e32 v59, 0x3f575c64, v14
	v_add_f32_e32 v50, v50, v55
	v_mul_f32_e32 v37, 0x3f68dda4, v37
	v_mov_b32_e32 v55, v36
	v_add_f32_e32 v68, v68, v72
	v_add_f32_e32 v57, v57, v66
	;; [unrolled: 1-line block ×4, first 2 shown]
	v_mov_b32_e32 v59, v54
	v_fma_f32 v54, v13, s3, -v37
	v_fmac_f32_e32 v55, 0x3ed4b147, v14
	v_fmac_f32_e32 v37, 0x3ed4b147, v13
	v_add_f32_e32 v66, v65, v67
	v_sub_f32_e32 v65, v65, v67
	v_add_f32_e32 v58, v58, v68
	v_fmac_f32_e32 v59, 0xbf75a155, v14
	v_add_f32_e32 v54, v54, v57
	v_add_f32_e32 v55, v55, v64
	;; [unrolled: 1-line block ×3, first 2 shown]
	v_fma_f32 v9, v14, s3, -v36
	v_add_f32_e32 v64, v38, v39
	v_sub_f32_e32 v68, v38, v39
	v_mul_f32_e32 v13, 0xbe903f40, v65
	v_add_f32_e32 v58, v59, v58
	v_add_f32_e32 v59, v9, v10
	v_fma_f32 v9, v64, s16, -v13
	v_mul_f32_e32 v14, 0xbe903f40, v68
	v_fmac_f32_e32 v13, 0xbf75a155, v64
	v_add_f32_e32 v4, v13, v4
	v_fma_f32 v13, v66, s16, -v14
	v_mul_f32_e32 v36, 0x3f0a6770, v65
	v_add_f32_e32 v5, v13, v5
	v_fma_f32 v13, v64, s2, -v36
	v_fmac_f32_e32 v36, 0x3f575c64, v64
	v_add_f32_e32 v36, v36, v40
	v_mul_f32_e32 v40, 0xbf4178ce, v65
	v_mul_f32_e32 v37, 0x3f0a6770, v68
	v_fma_f32 v38, v64, s15, -v40
	v_fmac_f32_e32 v40, 0xbf27a4f4, v64
	v_mov_b32_e32 v10, v14
	v_mov_b32_e32 v14, v37
	v_fma_f32 v37, v66, s2, -v37
	v_add_f32_e32 v40, v40, v44
	v_mul_f32_e32 v44, 0x3f68dda4, v65
	v_add_f32_e32 v37, v37, v42
	v_fma_f32 v42, v64, s3, -v44
	v_add_f32_e32 v9, v9, v41
	v_fmac_f32_e32 v10, 0xbf75a155, v66
	v_add_f32_e32 v38, v38, v45
	v_mul_f32_e32 v41, 0xbf4178ce, v68
	v_add_f32_e32 v42, v42, v49
	v_mul_f32_e32 v45, 0x3f68dda4, v68
	v_fmac_f32_e32 v44, 0x3ed4b147, v64
	v_mul_f32_e32 v49, 0xbf7d64f0, v68
	v_add_f32_e32 v10, v10, v48
	v_add_f32_e32 v13, v13, v43
	v_mov_b32_e32 v39, v41
	v_fma_f32 v41, v66, s15, -v41
	v_mov_b32_e32 v43, v45
	v_add_f32_e32 v44, v44, v47
	v_mul_f32_e32 v48, 0xbf7d64f0, v65
	v_mov_b32_e32 v47, v49
	v_fmac_f32_e32 v14, 0x3f575c64, v66
	v_fmac_f32_e32 v39, 0xbf27a4f4, v66
	v_add_f32_e32 v41, v41, v46
	v_fmac_f32_e32 v43, 0x3ed4b147, v66
	v_fma_f32 v45, v66, s3, -v45
	v_fma_f32 v46, v64, s14, -v48
	v_fmac_f32_e32 v47, 0xbe11bafb, v66
	v_fmac_f32_e32 v48, 0xbe11bafb, v64
	v_fma_f32 v49, v66, s14, -v49
	v_add_f32_e32 v14, v14, v51
	v_add_f32_e32 v39, v39, v56
	;; [unrolled: 1-line block ×8, first 2 shown]
	ds_write2_b64 v96, v[11:12], v[9:10] offset1:17
	ds_write2_b64 v96, v[13:14], v[38:39] offset0:34 offset1:51
	ds_write2_b64 v96, v[42:43], v[46:47] offset0:68 offset1:85
	;; [unrolled: 1-line block ×4, first 2 shown]
	ds_write_b64 v96, v[4:5] offset:1360
	v_add_u32_e32 v9, 0x400, v95
	s_waitcnt lgkmcnt(0)
	s_barrier
	ds_read2_b64 v[55:58], v95 offset1:85
	ds_read2_b64 v[64:67], v9 offset0:59 offset1:144
	ds_read2_b64 v[68:71], v53 offset0:118 offset1:203
	;; [unrolled: 1-line block ×3, first 2 shown]
	v_add_u32_e32 v10, 0x1400, v95
	ds_read2_b64 v[76:79], v10 offset0:108 offset1:193
	v_cmp_gt_u16_e64 s[2:3], 17, v91
	s_and_saveexec_b64 s[14:15], s[2:3]
	s_cbranch_execz .LBB0_9
; %bb.8:
	ds_read2_b64 v[4:7], v9 offset0:42 offset1:229
	ds_read2_b64 v[60:63], v8 offset0:32 offset1:219
	ds_read_b64 v[0:1], v95 offset:7344
.LBB0_9:
	s_or_b64 exec, exec, s[14:15]
	v_lshlrev_b32_e32 v8, 5, v91
	global_load_dwordx4 v[44:47], v8, s[12:13] offset:1360
	global_load_dwordx4 v[36:39], v8, s[12:13] offset:1376
	v_add_u32_e32 v8, 0xaa0, v8
	global_load_dwordx4 v[48:51], v8, s[12:13] offset:1360
	global_load_dwordx4 v[40:43], v8, s[12:13] offset:1376
	v_add_co_u32_e32 v8, vcc, 0xaa, v91
	s_movk_i32 s16, 0xffef
	v_addc_co_u32_e64 v9, s[14:15], 0, 0, vcc
	v_add_co_u32_e32 v11, vcc, s16, v91
	v_addc_co_u32_e64 v12, s[14:15], 0, -1, vcc
	v_cndmask_b32_e64 v9, v12, v9, s[2:3]
	v_cndmask_b32_e64 v8, v11, v8, s[2:3]
	v_lshlrev_b64 v[8:9], 5, v[8:9]
	v_mov_b32_e32 v10, s13
	v_add_co_u32_e32 v52, vcc, s12, v8
	v_addc_co_u32_e32 v53, vcc, v10, v9, vcc
	global_load_dwordx4 v[12:15], v[52:53], off offset:1360
	global_load_dwordx4 v[8:11], v[52:53], off offset:1376
	s_waitcnt vmcnt(5) lgkmcnt(3)
	v_mul_f32_e32 v52, v65, v45
	v_mul_f32_e32 v80, v64, v45
	s_waitcnt lgkmcnt(2)
	v_mul_f32_e32 v53, v69, v47
	s_waitcnt vmcnt(4) lgkmcnt(1)
	v_mul_f32_e32 v54, v73, v37
	s_waitcnt lgkmcnt(0)
	v_mul_f32_e32 v59, v77, v39
	v_mul_f32_e32 v83, v76, v39
	;; [unrolled: 1-line block ×4, first 2 shown]
	v_fma_f32 v64, v64, v44, -v52
	v_fmac_f32_e32 v80, v65, v44
	v_fma_f32 v65, v68, v46, -v53
	v_fma_f32 v68, v72, v36, -v54
	;; [unrolled: 1-line block ×3, first 2 shown]
	v_fmac_f32_e32 v83, v77, v38
	s_waitcnt vmcnt(3)
	v_mul_f32_e32 v76, v66, v49
	v_mul_f32_e32 v53, v71, v51
	s_waitcnt vmcnt(2)
	v_mul_f32_e32 v54, v75, v41
	v_fmac_f32_e32 v81, v69, v46
	v_fmac_f32_e32 v82, v73, v36
	v_mul_f32_e32 v52, v67, v49
	v_mul_f32_e32 v85, v74, v41
	s_waitcnt vmcnt(0)
	v_mul_f32_e32 v99, v62, v9
	v_mul_f32_e32 v77, v1, v11
	;; [unrolled: 1-line block ×3, first 2 shown]
	v_fmac_f32_e32 v76, v67, v48
	v_fma_f32 v94, v70, v50, -v53
	v_fma_f32 v74, v74, v40, -v54
	v_add_f32_e32 v53, v65, v68
	v_sub_f32_e32 v54, v64, v65
	v_sub_f32_e32 v67, v72, v68
	v_mul_f32_e32 v97, v6, v13
	v_mul_f32_e32 v69, v61, v15
	;; [unrolled: 1-line block ×4, first 2 shown]
	v_fmac_f32_e32 v99, v63, v8
	v_fma_f32 v63, v0, v10, -v77
	v_add_f32_e32 v0, v64, v72
	v_mul_f32_e32 v84, v70, v51
	v_fmac_f32_e32 v85, v75, v40
	v_fma_f32 v75, v78, v42, -v59
	v_fma_f32 v59, -0.5, v53, v55
	v_add_f32_e32 v53, v54, v67
	v_mul_f32_e32 v67, v7, v13
	v_fmac_f32_e32 v97, v7, v12
	v_fma_f32 v7, v60, v14, -v69
	v_fma_f32 v69, -0.5, v0, v55
	v_fmac_f32_e32 v84, v71, v50
	v_sub_f32_e32 v71, v81, v82
	v_fma_f32 v6, v6, v12, -v67
	v_mov_b32_e32 v67, v69
	v_sub_f32_e32 v70, v80, v83
	v_fmac_f32_e32 v100, v1, v10
	v_fmac_f32_e32 v67, 0xbf737871, v71
	v_sub_f32_e32 v0, v65, v64
	v_sub_f32_e32 v1, v68, v72
	v_fmac_f32_e32 v69, 0x3f737871, v71
	v_fmac_f32_e32 v67, 0x3f167918, v70
	v_add_f32_e32 v0, v0, v1
	v_fmac_f32_e32 v69, 0xbf167918, v70
	v_mov_b32_e32 v54, v59
	v_fmac_f32_e32 v67, 0x3e9e377a, v0
	v_fmac_f32_e32 v69, 0x3e9e377a, v0
	v_add_f32_e32 v0, v56, v80
	v_fmac_f32_e32 v54, 0x3f737871, v70
	v_fmac_f32_e32 v59, 0xbf737871, v70
	v_add_f32_e32 v0, v0, v81
	;; [unrolled: 3-line block ×4, first 2 shown]
	v_add_f32_e32 v0, v81, v82
	v_mul_f32_e32 v98, v60, v15
	v_fma_f32 v60, -0.5, v0, v56
	v_fma_f32 v66, v66, v48, -v52
	v_add_f32_e32 v52, v55, v64
	v_sub_f32_e32 v0, v64, v72
	v_mov_b32_e32 v55, v60
	v_fmac_f32_e32 v98, v61, v14
	v_fma_f32 v101, v62, v8, -v73
	v_fmac_f32_e32 v55, 0xbf737871, v0
	v_sub_f32_e32 v1, v65, v68
	v_sub_f32_e32 v61, v80, v81
	;; [unrolled: 1-line block ×3, first 2 shown]
	v_fmac_f32_e32 v60, 0x3f737871, v0
	v_fmac_f32_e32 v55, 0xbf167918, v1
	v_add_f32_e32 v61, v61, v62
	v_fmac_f32_e32 v60, 0x3f167918, v1
	v_fmac_f32_e32 v55, 0x3e9e377a, v61
	;; [unrolled: 1-line block ×3, first 2 shown]
	v_add_f32_e32 v61, v80, v83
	v_add_f32_e32 v52, v52, v65
	v_fma_f32 v70, -0.5, v61, v56
	v_add_f32_e32 v52, v52, v68
	v_mov_b32_e32 v68, v70
	v_fmac_f32_e32 v68, 0x3f737871, v1
	v_fmac_f32_e32 v70, 0xbf737871, v1
	;; [unrolled: 1-line block ×4, first 2 shown]
	v_add_f32_e32 v0, v57, v66
	v_add_f32_e32 v0, v0, v94
	v_sub_f32_e32 v56, v81, v80
	v_sub_f32_e32 v61, v82, v83
	v_add_f32_e32 v0, v0, v74
	v_mul_f32_e32 v86, v78, v43
	v_add_f32_e32 v56, v56, v61
	v_add_f32_e32 v61, v0, v75
	;; [unrolled: 1-line block ×3, first 2 shown]
	v_fmac_f32_e32 v86, v79, v42
	v_fma_f32 v77, -0.5, v0, v57
	v_sub_f32_e32 v0, v76, v86
	v_mov_b32_e32 v71, v77
	v_fmac_f32_e32 v68, 0x3e9e377a, v56
	v_fmac_f32_e32 v70, 0x3e9e377a, v56
	;; [unrolled: 1-line block ×3, first 2 shown]
	v_sub_f32_e32 v1, v84, v85
	v_sub_f32_e32 v56, v66, v94
	;; [unrolled: 1-line block ×3, first 2 shown]
	v_fmac_f32_e32 v77, 0xbf737871, v0
	v_fmac_f32_e32 v71, 0x3f167918, v1
	v_add_f32_e32 v56, v56, v62
	v_fmac_f32_e32 v77, 0xbf167918, v1
	v_fmac_f32_e32 v71, 0x3e9e377a, v56
	;; [unrolled: 1-line block ×3, first 2 shown]
	v_add_f32_e32 v56, v66, v75
	v_fma_f32 v57, -0.5, v56, v57
	v_mov_b32_e32 v73, v57
	v_fmac_f32_e32 v73, 0xbf737871, v1
	v_fmac_f32_e32 v57, 0x3f737871, v1
	;; [unrolled: 1-line block ×4, first 2 shown]
	v_add_f32_e32 v0, v58, v76
	v_add_f32_e32 v0, v0, v84
	v_sub_f32_e32 v56, v94, v66
	v_sub_f32_e32 v62, v74, v75
	v_add_f32_e32 v0, v0, v85
	v_add_f32_e32 v56, v56, v62
	;; [unrolled: 1-line block ×4, first 2 shown]
	v_fma_f32 v78, -0.5, v0, v58
	v_add_f32_e32 v52, v52, v72
	v_sub_f32_e32 v0, v66, v75
	v_mov_b32_e32 v72, v78
	v_fmac_f32_e32 v73, 0x3e9e377a, v56
	v_fmac_f32_e32 v57, 0x3e9e377a, v56
	v_fmac_f32_e32 v72, 0xbf737871, v0
	v_sub_f32_e32 v1, v94, v74
	v_sub_f32_e32 v56, v76, v84
	;; [unrolled: 1-line block ×3, first 2 shown]
	v_fmac_f32_e32 v78, 0x3f737871, v0
	v_fmac_f32_e32 v72, 0xbf167918, v1
	v_add_f32_e32 v56, v56, v64
	v_fmac_f32_e32 v78, 0x3f167918, v1
	v_fmac_f32_e32 v72, 0x3e9e377a, v56
	;; [unrolled: 1-line block ×3, first 2 shown]
	v_add_f32_e32 v56, v76, v86
	v_fmac_f32_e32 v58, -0.5, v56
	v_mov_b32_e32 v74, v58
	v_fmac_f32_e32 v74, 0x3f737871, v1
	v_fmac_f32_e32 v58, 0xbf737871, v1
	v_fmac_f32_e32 v74, 0xbf167918, v0
	v_fmac_f32_e32 v58, 0x3f167918, v0
	v_add_f32_e32 v0, v4, v6
	v_add_f32_e32 v0, v0, v7
	;; [unrolled: 1-line block ×5, first 2 shown]
	v_sub_f32_e32 v56, v84, v76
	v_sub_f32_e32 v64, v85, v86
	v_fma_f32 v0, -0.5, v0, v4
	v_add_f32_e32 v56, v56, v64
	v_sub_f32_e32 v1, v97, v100
	v_mov_b32_e32 v81, v0
	v_fmac_f32_e32 v74, 0x3e9e377a, v56
	v_fmac_f32_e32 v58, 0x3e9e377a, v56
	;; [unrolled: 1-line block ×3, first 2 shown]
	v_sub_f32_e32 v56, v98, v99
	v_sub_f32_e32 v64, v6, v7
	;; [unrolled: 1-line block ×3, first 2 shown]
	v_fmac_f32_e32 v0, 0xbf737871, v1
	v_fmac_f32_e32 v81, 0x3f167918, v56
	v_add_f32_e32 v64, v64, v65
	v_fmac_f32_e32 v0, 0xbf167918, v56
	v_fmac_f32_e32 v81, 0x3e9e377a, v64
	;; [unrolled: 1-line block ×3, first 2 shown]
	v_add_f32_e32 v64, v6, v63
	v_fmac_f32_e32 v4, -0.5, v64
	v_mov_b32_e32 v83, v4
	v_fmac_f32_e32 v83, 0xbf737871, v56
	v_fmac_f32_e32 v4, 0x3f737871, v56
	;; [unrolled: 1-line block ×4, first 2 shown]
	v_add_f32_e32 v1, v5, v97
	v_add_f32_e32 v1, v1, v98
	;; [unrolled: 1-line block ×5, first 2 shown]
	v_fma_f32 v1, -0.5, v1, v5
	v_sub_f32_e32 v64, v7, v6
	v_sub_f32_e32 v6, v6, v63
	v_mov_b32_e32 v82, v1
	v_sub_f32_e32 v65, v101, v63
	v_fmac_f32_e32 v82, 0xbf737871, v6
	v_sub_f32_e32 v7, v7, v101
	v_sub_f32_e32 v56, v97, v98
	;; [unrolled: 1-line block ×3, first 2 shown]
	v_fmac_f32_e32 v1, 0x3f737871, v6
	v_fmac_f32_e32 v82, 0xbf167918, v7
	v_add_f32_e32 v56, v56, v63
	v_fmac_f32_e32 v1, 0x3f167918, v7
	v_fmac_f32_e32 v82, 0x3e9e377a, v56
	;; [unrolled: 1-line block ×3, first 2 shown]
	v_add_f32_e32 v56, v97, v100
	v_fmac_f32_e32 v5, -0.5, v56
	v_mov_b32_e32 v84, v5
	v_fmac_f32_e32 v84, 0x3f737871, v7
	v_sub_f32_e32 v56, v98, v97
	v_sub_f32_e32 v63, v99, v100
	v_fmac_f32_e32 v5, 0xbf737871, v7
	v_fmac_f32_e32 v84, 0xbf167918, v6
	v_add_f32_e32 v56, v56, v63
	v_fmac_f32_e32 v5, 0x3f167918, v6
	v_fmac_f32_e32 v84, 0x3e9e377a, v56
	;; [unrolled: 1-line block ×3, first 2 shown]
	v_lshl_add_u32 v56, v91, 3, v93
	v_add_u32_e32 v6, 0x400, v56
	ds_write2_b64 v6, v[54:55], v[67:68] offset0:59 offset1:246
	v_add_u32_e32 v6, 0x1000, v56
	v_add_u32_e32 v97, v90, v93
	v_add_f32_e32 v64, v64, v65
	ds_write2_b64 v6, v[69:70], v[59:60] offset0:49 offset1:236
	v_add_u32_e32 v6, 0x800, v97
	v_fmac_f32_e32 v83, 0x3e9e377a, v64
	v_fmac_f32_e32 v4, 0x3e9e377a, v64
	ds_write2_b64 v56, v[52:53], v[61:62] offset1:85
	ds_write2_b64 v6, v[71:72], v[73:74] offset0:16 offset1:203
	v_add_u32_e32 v6, 0x1400, v97
	ds_write2_b64 v6, v[57:58], v[77:78] offset0:6 offset1:193
	s_and_saveexec_b64 s[12:13], s[2:3]
	s_cbranch_execz .LBB0_11
; %bb.10:
	v_add_u32_e32 v6, 0x400, v56
	ds_write2_b64 v6, v[79:80], v[81:82] offset0:42 offset1:229
	v_add_u32_e32 v6, 0x1000, v56
	ds_write2_b64 v6, v[83:84], v[4:5] offset0:32 offset1:219
	ds_write_b64 v56, v[0:1] offset:7344
.LBB0_11:
	s_or_b64 exec, exec, s[12:13]
	s_waitcnt lgkmcnt(0)
	s_barrier
	s_and_saveexec_b64 s[12:13], s[0:1]
	s_cbranch_execz .LBB0_13
; %bb.12:
	v_mov_b32_e32 v6, s9
	v_add_co_u32_e32 v65, vcc, s8, v90
	v_addc_co_u32_e32 v66, vcc, 0, v6, vcc
	v_add_co_u32_e32 v6, vcc, 0x1d38, v65
	v_addc_co_u32_e32 v7, vcc, 0, v66, vcc
	v_add_co_u32_e32 v63, vcc, 0x1000, v65
	global_load_dwordx2 v[75:76], v[6:7], off offset:440
	global_load_dwordx2 v[85:86], v[6:7], off offset:880
	;; [unrolled: 1-line block ×7, first 2 shown]
	v_addc_co_u32_e32 v64, vcc, 0, v66, vcc
	global_load_dwordx2 v[124:125], v[6:7], off offset:3520
	global_load_dwordx2 v[126:127], v[63:64], off offset:3384
	s_movk_i32 s14, 0x2000
	v_add_co_u32_e32 v63, vcc, s14, v65
	s_movk_i32 s15, 0x3000
	v_addc_co_u32_e32 v64, vcc, 0, v66, vcc
	v_add_co_u32_e32 v110, vcc, s15, v65
	v_addc_co_u32_e32 v111, vcc, 0, v66, vcc
	global_load_dwordx2 v[128:129], v[63:64], off offset:3688
	global_load_dwordx2 v[130:131], v[110:111], off offset:32
	;; [unrolled: 1-line block ×6, first 2 shown]
	v_add_u32_e32 v94, 0x400, v56
	global_load_dwordx2 v[6:7], v[110:111], off offset:1792
	ds_read2_b64 v[63:66], v56 offset1:55
	ds_read2_b64 v[98:101], v56 offset0:110 offset1:165
	v_add_u32_e32 v144, 0x800, v56
	ds_read2_b64 v[102:105], v94 offset0:92 offset1:147
	ds_read2_b64 v[106:109], v144 offset0:74 offset1:129
	global_load_dwordx2 v[140:141], v[110:111], off offset:2232
	ds_read2_b64 v[110:113], v144 offset0:184 offset1:239
	s_waitcnt vmcnt(16) lgkmcnt(4)
	v_mul_f32_e32 v142, v66, v76
	v_mul_f32_e32 v143, v65, v76
	s_waitcnt vmcnt(15) lgkmcnt(3)
	v_mul_f32_e32 v145, v99, v86
	v_mul_f32_e32 v76, v98, v86
	s_waitcnt vmcnt(14)
	v_mul_f32_e32 v146, v101, v115
	v_mul_f32_e32 v86, v100, v115
	s_waitcnt vmcnt(13) lgkmcnt(2)
	v_mul_f32_e32 v147, v103, v117
	v_mul_f32_e32 v115, v102, v117
	s_waitcnt vmcnt(12)
	;; [unrolled: 6-line block ×3, first 2 shown]
	v_mul_f32_e32 v150, v109, v123
	v_mul_f32_e32 v121, v108, v123
	s_waitcnt vmcnt(8)
	v_mul_f32_e32 v152, v64, v127
	v_mul_f32_e32 v123, v63, v127
	v_fma_f32 v142, v65, v75, -v142
	v_fmac_f32_e32 v143, v66, v75
	v_fma_f32 v75, v98, v85, -v145
	v_fmac_f32_e32 v76, v99, v85
	;; [unrolled: 2-line block ×8, first 2 shown]
	ds_write2_b64 v56, v[75:76], v[85:86] offset0:110 offset1:165
	ds_write2_b64 v94, v[114:115], v[116:117] offset0:92 offset1:147
	ds_write2_b64 v144, v[118:119], v[120:121] offset0:74 offset1:129
	ds_write2_b64 v56, v[122:123], v[142:143] offset1:55
	v_add_u32_e32 v94, 0x1000, v56
	ds_read2_b64 v[63:66], v94 offset0:38 offset1:93
	s_waitcnt lgkmcnt(5)
	v_mul_f32_e32 v151, v111, v125
	v_mul_f32_e32 v99, v110, v125
	s_waitcnt vmcnt(5)
	v_mul_f32_e32 v75, v113, v133
	v_mul_f32_e32 v76, v112, v133
	v_fma_f32 v98, v110, v124, -v151
	v_fmac_f32_e32 v99, v111, v124
	v_fma_f32 v75, v112, v132, -v75
	v_fmac_f32_e32 v76, v113, v132
	ds_write2_b64 v144, v[98:99], v[75:76] offset0:184 offset1:239
	ds_read2_b64 v[98:101], v94 offset0:148 offset1:203
	s_waitcnt lgkmcnt(2)
	v_mul_f32_e32 v75, v64, v129
	v_mul_f32_e32 v76, v63, v129
	v_fma_f32 v75, v63, v128, -v75
	v_fmac_f32_e32 v76, v64, v128
	v_mul_f32_e32 v63, v66, v131
	v_mul_f32_e32 v64, v65, v131
	v_fma_f32 v63, v65, v130, -v63
	v_fmac_f32_e32 v64, v66, v130
	ds_write2_b64 v94, v[75:76], v[63:64] offset0:38 offset1:93
	s_waitcnt vmcnt(4) lgkmcnt(1)
	v_mul_f32_e32 v63, v99, v135
	v_fma_f32 v75, v98, v134, -v63
	v_mul_f32_e32 v76, v98, v135
	v_add_u32_e32 v98, 0x1800, v56
	ds_read2_b64 v[63:66], v98 offset0:2 offset1:57
	s_waitcnt vmcnt(3)
	v_mul_f32_e32 v85, v101, v137
	v_mul_f32_e32 v86, v100, v137
	v_fmac_f32_e32 v76, v99, v134
	v_fma_f32 v85, v100, v136, -v85
	v_fmac_f32_e32 v86, v101, v136
	ds_write2_b64 v94, v[75:76], v[85:86] offset0:148 offset1:203
	s_waitcnt vmcnt(2) lgkmcnt(1)
	v_mul_f32_e32 v75, v64, v139
	v_mul_f32_e32 v76, v63, v139
	v_fma_f32 v75, v63, v138, -v75
	v_fmac_f32_e32 v76, v64, v138
	ds_read_b64 v[63:64], v56 offset:7040
	s_waitcnt vmcnt(1)
	v_mul_f32_e32 v85, v66, v7
	v_mul_f32_e32 v86, v65, v7
	v_fma_f32 v85, v65, v6, -v85
	v_fmac_f32_e32 v86, v66, v6
	s_waitcnt vmcnt(0) lgkmcnt(0)
	v_mul_f32_e32 v6, v64, v141
	v_mul_f32_e32 v7, v63, v141
	v_fma_f32 v6, v63, v140, -v6
	v_fmac_f32_e32 v7, v64, v140
	ds_write2_b64 v98, v[75:76], v[85:86] offset0:2 offset1:57
	ds_write_b64 v56, v[6:7] offset:7040
.LBB0_13:
	s_or_b64 exec, exec, s[12:13]
	s_waitcnt lgkmcnt(0)
	s_barrier
	s_and_saveexec_b64 s[12:13], s[0:1]
	s_cbranch_execz .LBB0_15
; %bb.14:
	v_add_u32_e32 v0, 0x400, v56
	ds_read2_b64 v[52:55], v56 offset1:55
	ds_read2_b64 v[67:70], v56 offset0:110 offset1:165
	ds_read2_b64 v[59:62], v0 offset0:92 offset1:147
	v_add_u32_e32 v0, 0x800, v56
	ds_read2_b64 v[71:74], v0 offset0:74 offset1:129
	ds_read2_b64 v[75:78], v0 offset0:184 offset1:239
	v_add_u32_e32 v0, 0x1000, v56
	;; [unrolled: 3-line block ×3, first 2 shown]
	ds_read2_b64 v[0:3], v0 offset0:2 offset1:57
	ds_read_b64 v[88:89], v56 offset:7040
	s_waitcnt lgkmcnt(4)
	v_mov_b32_e32 v57, v75
	s_waitcnt lgkmcnt(3)
	v_mov_b32_e32 v4, v85
	v_mov_b32_e32 v5, v86
	;; [unrolled: 1-line block ×3, first 2 shown]
.LBB0_15:
	s_or_b64 exec, exec, s[12:13]
	s_waitcnt lgkmcnt(0)
	v_sub_f32_e32 v112, v55, v89
	v_add_f32_e32 v98, v88, v54
	v_add_f32_e32 v115, v89, v55
	s_mov_b32 s14, 0x3ee437d1
	v_mul_f32_e32 v251, 0xbf65296c, v112
	v_sub_f32_e32 v116, v68, v3
	v_mul_f32_e32 v124, 0x3ee437d1, v115
	v_fma_f32 v6, v98, s14, -v251
	v_add_f32_e32 v100, v2, v67
	v_add_f32_e32 v117, v3, v68
	v_mul_f32_e32 v125, 0xbf4c4adb, v116
	v_sub_f32_e32 v99, v54, v88
	v_add_f32_e32 v6, v52, v6
	v_mov_b32_e32 v7, v124
	v_mul_f32_e32 v129, 0xbf1a4643, v117
	v_fma_f32 v85, v100, s17, -v125
	v_fmac_f32_e32 v7, 0xbf65296c, v99
	s_mov_b32 s15, 0x3dbcf732
	v_mul_f32_e32 v128, 0xbf7ee86f, v112
	v_sub_f32_e32 v101, v67, v2
	v_add_f32_e32 v6, v85, v6
	v_mov_b32_e32 v85, v129
	v_add_f32_e32 v7, v53, v7
	v_mul_f32_e32 v130, 0x3dbcf732, v115
	v_fma_f32 v63, v98, s15, -v128
	v_fmac_f32_e32 v85, 0xbf4c4adb, v101
	v_mul_f32_e32 v134, 0xbe3c28d5, v116
	v_add_f32_e32 v63, v52, v63
	v_mov_b32_e32 v64, v130
	v_add_f32_e32 v7, v85, v7
	v_mul_f32_e32 v137, 0xbf7ba420, v117
	v_fma_f32 v85, v100, s18, -v134
	v_fmac_f32_e32 v64, 0xbf7ee86f, v99
	s_mov_b32 s16, 0xbe8c1d8e
	v_mul_f32_e32 v135, 0xbf763a35, v112
	v_add_f32_e32 v63, v85, v63
	v_mov_b32_e32 v85, v137
	v_add_f32_e32 v64, v53, v64
	v_mul_f32_e32 v140, 0xbe8c1d8e, v115
	v_fma_f32 v65, v98, s16, -v135
	v_fmac_f32_e32 v85, 0xbe3c28d5, v101
	v_mul_f32_e32 v143, 0x3f06c442, v116
	v_add_f32_e32 v65, v52, v65
	v_mov_b32_e32 v66, v140
	v_add_f32_e32 v64, v85, v64
	v_mul_f32_e32 v149, 0xbf59a7d5, v117
	v_fma_f32 v85, v100, s19, -v143
	v_fmac_f32_e32 v66, 0xbf763a35, v99
	;; [unrolled: 7-line block ×4, first 2 shown]
	v_add_f32_e32 v75, v85, v75
	v_mov_b32_e32 v85, v159
	v_sub_f32_e32 v118, v70, v1
	v_add_f32_e32 v76, v53, v76
	v_fmac_f32_e32 v85, 0x3f763a35, v101
	v_add_f32_e32 v102, v0, v69
	v_add_f32_e32 v119, v1, v70
	v_mul_f32_e32 v133, 0x3e3c28d5, v118
	v_add_f32_e32 v76, v85, v76
	v_mul_f32_e32 v136, 0xbf7ba420, v119
	v_fma_f32 v85, v102, s18, -v133
	v_sub_f32_e32 v103, v69, v0
	v_add_f32_e32 v6, v85, v6
	v_mov_b32_e32 v85, v136
	v_fmac_f32_e32 v85, 0x3e3c28d5, v103
	v_mul_f32_e32 v142, 0x3f763a35, v118
	v_add_f32_e32 v7, v85, v7
	v_mul_f32_e32 v147, 0xbe8c1d8e, v119
	v_fma_f32 v85, v102, s16, -v142
	v_add_f32_e32 v63, v85, v63
	v_mov_b32_e32 v85, v147
	v_fmac_f32_e32 v85, 0x3f763a35, v103
	s_mov_b32 s20, 0x3f3d2fb0
	v_mul_f32_e32 v152, 0x3f2c7751, v118
	v_add_f32_e32 v64, v85, v64
	v_mul_f32_e32 v157, 0x3f3d2fb0, v119
	v_fma_f32 v85, v102, s20, -v152
	v_add_f32_e32 v65, v85, v65
	v_mov_b32_e32 v85, v157
	v_fmac_f32_e32 v85, 0x3f2c7751, v103
	s_mov_b32 s21, 0x3f6eb680
	v_mul_f32_e32 v163, 0xbeb8f4ab, v118
	v_add_f32_e32 v66, v85, v66
	v_mul_f32_e32 v167, 0x3f6eb680, v119
	v_fma_f32 v85, v102, s21, -v163
	v_add_f32_e32 v75, v85, v75
	v_mov_b32_e32 v85, v167
	v_sub_f32_e32 v120, v60, v5
	v_fmac_f32_e32 v85, 0xbeb8f4ab, v103
	v_add_f32_e32 v104, v4, v59
	v_add_f32_e32 v123, v5, v60
	v_mul_f32_e32 v141, 0x3f763a35, v120
	v_add_f32_e32 v76, v85, v76
	v_mul_f32_e32 v144, 0xbe8c1d8e, v123
	v_fma_f32 v85, v104, s16, -v141
	v_sub_f32_e32 v105, v59, v4
	v_add_f32_e32 v6, v85, v6
	v_mov_b32_e32 v85, v144
	v_fmac_f32_e32 v85, 0x3f763a35, v105
	v_mul_f32_e32 v150, 0x3eb8f4ab, v120
	v_add_f32_e32 v7, v85, v7
	v_mul_f32_e32 v155, 0x3f6eb680, v123
	v_fma_f32 v85, v104, s21, -v150
	v_add_f32_e32 v63, v85, v63
	v_mov_b32_e32 v85, v155
	v_fmac_f32_e32 v85, 0x3eb8f4ab, v105
	v_mul_f32_e32 v161, 0xbf65296c, v120
	v_add_f32_e32 v64, v85, v64
	v_mul_f32_e32 v165, 0x3ee437d1, v123
	v_fma_f32 v85, v104, s14, -v161
	v_add_f32_e32 v65, v85, v65
	v_mov_b32_e32 v85, v165
	v_fmac_f32_e32 v85, 0xbf65296c, v105
	v_mul_f32_e32 v171, 0xbf06c442, v120
	v_add_f32_e32 v66, v85, v66
	v_mul_f32_e32 v175, 0xbf59a7d5, v123
	v_fma_f32 v85, v104, s19, -v171
	v_add_f32_e32 v75, v85, v75
	v_mov_b32_e32 v85, v175
	v_sub_f32_e32 v122, v62, v84
	v_fmac_f32_e32 v85, 0xbf06c442, v105
	v_add_f32_e32 v106, v83, v61
	v_add_f32_e32 v127, v84, v62
	v_mul_f32_e32 v148, 0x3f2c7751, v122
	v_add_f32_e32 v76, v85, v76
	v_mul_f32_e32 v153, 0x3f3d2fb0, v127
	v_fma_f32 v85, v106, s20, -v148
	v_sub_f32_e32 v107, v61, v83
	v_add_f32_e32 v6, v85, v6
	v_mov_b32_e32 v85, v153
	v_fmac_f32_e32 v85, 0x3f2c7751, v107
	v_mul_f32_e32 v158, 0xbf65296c, v122
	v_add_f32_e32 v7, v85, v7
	v_mul_f32_e32 v162, 0x3ee437d1, v127
	v_fma_f32 v85, v106, s14, -v158
	v_add_f32_e32 v63, v85, v63
	v_mov_b32_e32 v85, v162
	v_fmac_f32_e32 v85, 0xbf65296c, v107
	v_mul_f32_e32 v169, 0xbe3c28d5, v122
	v_add_f32_e32 v64, v85, v64
	v_mul_f32_e32 v173, 0xbf7ba420, v127
	v_fma_f32 v85, v106, s18, -v169
	v_add_f32_e32 v65, v85, v65
	v_mov_b32_e32 v85, v173
	v_fmac_f32_e32 v85, 0xbe3c28d5, v107
	;; [unrolled: 32-line block ×4, first 2 shown]
	v_mul_f32_e32 v189, 0xbe3c28d5, v131
	v_add_f32_e32 v86, v65, v66
	v_mul_f32_e32 v191, 0xbf7ba420, v139
	v_fma_f32 v65, v110, s18, -v189
	v_add_f32_e32 v94, v65, v75
	v_mov_b32_e32 v65, v191
	v_sub_f32_e32 v138, v58, v78
	v_fmac_f32_e32 v65, 0xbe3c28d5, v111
	v_add_f32_e32 v113, v77, v57
	v_add_f32_e32 v146, v78, v58
	v_mul_f32_e32 v172, 0xbf06c442, v138
	v_add_f32_e32 v194, v65, v76
	v_mul_f32_e32 v176, 0xbf59a7d5, v146
	v_fma_f32 v65, v113, s19, -v172
	v_sub_f32_e32 v114, v57, v77
	v_add_f32_e32 v75, v65, v6
	v_mov_b32_e32 v6, v176
	v_fmac_f32_e32 v6, 0xbf06c442, v114
	v_mul_f32_e32 v181, 0x3f2c7751, v138
	v_add_f32_e32 v76, v6, v7
	v_mul_f32_e32 v184, 0x3f3d2fb0, v146
	v_fma_f32 v6, v113, s20, -v181
	v_add_f32_e32 v65, v6, v63
	v_mov_b32_e32 v6, v184
	v_fmac_f32_e32 v6, 0x3f2c7751, v114
	v_mul_f32_e32 v188, 0xbf4c4adb, v138
	v_add_f32_e32 v66, v6, v64
	v_mul_f32_e32 v190, 0xbf1a4643, v146
	v_fma_f32 v6, v113, s17, -v188
	v_add_f32_e32 v63, v6, v85
	v_mov_b32_e32 v6, v190
	v_mul_f32_e32 v193, 0x3ee437d1, v146
	v_fmac_f32_e32 v6, 0xbf4c4adb, v114
	v_mul_f32_e32 v192, 0x3f65296c, v138
	v_mov_b32_e32 v7, v193
	v_add_f32_e32 v64, v6, v86
	v_fma_f32 v6, v113, s14, -v192
	v_fmac_f32_e32 v7, 0x3f65296c, v114
	v_add_f32_e32 v6, v6, v94
	v_add_f32_e32 v7, v7, v194
	s_barrier
	s_and_saveexec_b64 s[12:13], s[0:1]
	s_cbranch_execz .LBB0_17
; %bb.16:
	v_add_f32_e32 v55, v55, v53
	v_add_f32_e32 v55, v68, v55
	v_mul_f32_e32 v252, 0xbf7ba420, v115
	v_add_f32_e32 v55, v70, v55
	v_mov_b32_e32 v85, v252
	v_mul_f32_e32 v253, 0x3f6eb680, v117
	v_add_f32_e32 v55, v60, v55
	v_fmac_f32_e32 v85, 0x3e3c28d5, v99
	v_mov_b32_e32 v86, v253
	v_add_f32_e32 v55, v62, v55
	v_add_f32_e32 v85, v53, v85
	v_fmac_f32_e32 v86, 0xbeb8f4ab, v101
	v_mul_f32_e32 v254, 0xbf59a7d5, v119
	v_add_f32_e32 v55, v72, v55
	v_add_f32_e32 v85, v86, v85
	v_mov_b32_e32 v86, v254
	v_add_f32_e32 v55, v74, v55
	v_fmac_f32_e32 v86, 0x3f06c442, v103
	v_mul_f32_e32 v255, 0x3f3d2fb0, v123
	v_add_f32_e32 v55, v58, v55
	v_add_f32_e32 v85, v86, v85
	v_mov_b32_e32 v86, v255
	v_add_f32_e32 v55, v78, v55
	v_fmac_f32_e32 v86, 0xbf2c7751, v105
	buffer_store_dword v93, off, s[24:27], 0 offset:16 ; 4-byte Folded Spill
	v_mul_f32_e32 v93, 0xbf1a4643, v127
	v_add_f32_e32 v55, v80, v55
	v_add_f32_e32 v85, v86, v85
	v_mov_b32_e32 v86, v93
	v_add_f32_e32 v55, v82, v55
	v_fmac_f32_e32 v86, 0x3f4c4adb, v107
	buffer_store_dword v92, off, s[24:27], 0 offset:8 ; 4-byte Folded Spill
	;; [unrolled: 7-line block ×3, first 2 shown]
	v_mul_f32_e32 v97, 0xbe8c1d8e, v139
	v_add_f32_e32 v1, v1, v5
	v_add_f32_e32 v85, v86, v85
	v_mov_b32_e32 v86, v97
	v_add_f32_e32 v1, v3, v1
	v_add_f32_e32 v3, v54, v52
	v_fmac_f32_e32 v86, 0x3f763a35, v111
	buffer_store_dword v91, off, s[24:27], 0 offset:4 ; 4-byte Folded Spill
	v_mul_f32_e32 v91, 0x3dbcf732, v146
	v_add_f32_e32 v3, v67, v3
	v_add_f32_e32 v85, v86, v85
	v_mov_b32_e32 v86, v91
	v_add_f32_e32 v3, v69, v3
	v_fmac_f32_e32 v86, 0xbf7ee86f, v114
	v_add_f32_e32 v3, v59, v3
	v_add_f32_e32 v86, v86, v85
	v_mul_f32_e32 v85, 0xbe3c28d5, v112
	v_add_f32_e32 v3, v61, v3
	buffer_store_dword v85, off, s[24:27], 0 offset:28 ; 4-byte Folded Spill
	v_fmac_f32_e32 v85, 0xbf7ba420, v98
	v_mul_f32_e32 v194, 0x3eb8f4ab, v116
	v_add_f32_e32 v3, v71, v3
	v_add_f32_e32 v85, v52, v85
	buffer_store_dword v194, off, s[24:27], 0 offset:32 ; 4-byte Folded Spill
	v_fmac_f32_e32 v194, 0x3f6eb680, v100
	v_add_f32_e32 v3, v73, v3
	v_add_f32_e32 v85, v194, v85
	v_mul_f32_e32 v194, 0xbf06c442, v118
	v_add_f32_e32 v3, v57, v3
	buffer_store_dword v194, off, s[24:27], 0 offset:36 ; 4-byte Folded Spill
	v_fmac_f32_e32 v194, 0xbf59a7d5, v102
	v_add_f32_e32 v3, v77, v3
	v_add_f32_e32 v85, v194, v85
	v_mul_f32_e32 v194, 0x3f2c7751, v120
	v_add_f32_e32 v3, v79, v3
	buffer_store_dword v194, off, s[24:27], 0 offset:40 ; 4-byte Folded Spill
	v_fmac_f32_e32 v194, 0x3f3d2fb0, v104
	v_add_f32_e32 v3, v81, v3
	v_add_f32_e32 v85, v194, v85
	v_mul_f32_e32 v194, 0xbf4c4adb, v122
	v_add_f32_e32 v3, v83, v3
	buffer_store_dword v194, off, s[24:27], 0 offset:44 ; 4-byte Folded Spill
	v_fmac_f32_e32 v194, 0xbf1a4643, v106
	v_mul_f32_e32 v228, 0x3f65296c, v126
	v_add_f32_e32 v3, v4, v3
	v_add_f32_e32 v85, v194, v85
	v_mov_b32_e32 v194, v228
	v_add_f32_e32 v0, v0, v3
	v_fmac_f32_e32 v252, 0xbe3c28d5, v99
	v_fmac_f32_e32 v194, 0x3ee437d1, v108
	v_mul_f32_e32 v221, 0xbf763a35, v131
	v_add_f32_e32 v0, v2, v0
	v_add_f32_e32 v2, v53, v252
	v_fmac_f32_e32 v253, 0x3eb8f4ab, v101
	v_add_f32_e32 v85, v194, v85
	v_mov_b32_e32 v194, v221
	v_add_f32_e32 v2, v253, v2
	v_fmac_f32_e32 v254, 0xbf06c442, v103
	v_fmac_f32_e32 v194, 0xbe8c1d8e, v110
	v_mul_f32_e32 v213, 0x3f7ee86f, v138
	v_add_f32_e32 v2, v254, v2
	v_fmac_f32_e32 v255, 0x3f2c7751, v105
	v_add_f32_e32 v85, v194, v85
	v_mov_b32_e32 v194, v213
	v_add_f32_e32 v2, v255, v2
	v_fmac_f32_e32 v93, 0xbf4c4adb, v107
	v_fmac_f32_e32 v194, 0x3dbcf732, v113
	v_add_f32_e32 v2, v93, v2
	v_fmac_f32_e32 v92, 0x3f65296c, v109
	v_add_f32_e32 v85, v194, v85
	v_add_f32_e32 v2, v92, v2
	v_fmac_f32_e32 v97, 0xbf763a35, v111
	buffer_store_dword v85, off, s[24:27], 0 offset:20 ; 4-byte Folded Spill
	s_nop 0
	buffer_store_dword v86, off, s[24:27], 0 offset:24 ; 4-byte Folded Spill
	v_add_f32_e32 v2, v97, v2
	v_fmac_f32_e32 v91, 0x3f7ee86f, v114
	buffer_load_dword v92, off, s[24:27], 0 offset:8 ; 4-byte Folded Reload
	buffer_load_dword v97, off, s[24:27], 0 offset:12 ; 4-byte Folded Reload
	v_add_f32_e32 v3, v91, v2
	buffer_load_dword v91, off, s[24:27], 0 offset:4 ; 4-byte Folded Reload
	buffer_load_dword v2, off, s[24:27], 0 offset:28 ; 4-byte Folded Reload
	;; [unrolled: 1-line block ×3, first 2 shown]
	v_mul_f32_e32 v202, 0xbf4c4adb, v99
	v_mul_f32_e32 v210, 0x3f763a35, v101
	v_sub_f32_e32 v151, v151, v202
	v_mul_f32_e32 v218, 0xbeb8f4ab, v103
	v_sub_f32_e32 v159, v159, v210
	v_add_f32_e32 v151, v53, v151
	v_mul_f32_e32 v226, 0xbf06c442, v105
	v_add_f32_e32 v151, v159, v151
	v_sub_f32_e32 v167, v167, v218
	v_mul_f32_e32 v234, 0x3f7ee86f, v107
	v_add_f32_e32 v151, v167, v151
	v_sub_f32_e32 v175, v175, v226
	v_mul_f32_e32 v242, 0xbf2c7751, v109
	v_add_f32_e32 v151, v175, v151
	v_sub_f32_e32 v175, v182, v234
	v_mul_f32_e32 v250, 0xbe3c28d5, v111
	v_add_f32_e32 v151, v175, v151
	v_sub_f32_e32 v175, v187, v242
	v_mul_f32_e32 v201, 0xbf1a4643, v98
	v_mul_f32_e32 v167, 0x3f65296c, v114
	v_add_f32_e32 v151, v175, v151
	v_sub_f32_e32 v175, v191, v250
	v_mul_f32_e32 v209, 0xbe8c1d8e, v100
	v_add_f32_e32 v151, v175, v151
	v_sub_f32_e32 v167, v193, v167
	v_add_f32_e32 v145, v201, v145
	v_mul_f32_e32 v217, 0x3f6eb680, v102
	v_add_f32_e32 v193, v167, v151
	v_add_f32_e32 v145, v52, v145
	;; [unrolled: 1-line block ×3, first 2 shown]
	v_mul_f32_e32 v225, 0xbf59a7d5, v104
	v_add_f32_e32 v145, v151, v145
	v_add_f32_e32 v151, v217, v163
	v_mul_f32_e32 v233, 0x3dbcf732, v106
	v_add_f32_e32 v145, v151, v145
	v_add_f32_e32 v151, v225, v171
	;; [unrolled: 3-line block ×4, first 2 shown]
	v_mul_f32_e32 v200, 0xbf763a35, v99
	v_mul_f32_e32 v218, 0x3ee437d1, v113
	v_add_f32_e32 v145, v151, v145
	v_add_f32_e32 v151, v249, v189
	v_mul_f32_e32 v208, 0x3f06c442, v101
	v_add_f32_e32 v145, v151, v145
	v_add_f32_e32 v151, v218, v192
	v_sub_f32_e32 v140, v140, v200
	v_mul_f32_e32 v216, 0x3f2c7751, v103
	v_add_f32_e32 v192, v151, v145
	v_add_f32_e32 v140, v53, v140
	v_sub_f32_e32 v145, v149, v208
	v_mul_f32_e32 v224, 0xbf65296c, v105
	v_add_f32_e32 v140, v145, v140
	v_sub_f32_e32 v145, v157, v216
	v_mul_f32_e32 v232, 0xbe3c28d5, v107
	;; [unrolled: 3-line block ×5, first 2 shown]
	v_mul_f32_e32 v159, 0xbf4c4adb, v114
	v_add_f32_e32 v140, v145, v140
	v_sub_f32_e32 v145, v186, v248
	v_mul_f32_e32 v207, 0xbf59a7d5, v100
	v_add_f32_e32 v140, v145, v140
	v_sub_f32_e32 v145, v190, v159
	v_add_f32_e32 v135, v199, v135
	v_mul_f32_e32 v215, 0x3f3d2fb0, v102
	v_add_f32_e32 v180, v145, v140
	v_add_f32_e32 v135, v52, v135
	;; [unrolled: 1-line block ×3, first 2 shown]
	s_waitcnt vmcnt(1)
	v_fma_f32 v2, v98, s18, -v2
	v_add_f32_e32 v2, v52, v2
	s_waitcnt vmcnt(0)
	v_fma_f32 v4, v100, s21, -v4
	v_add_f32_e32 v2, v4, v2
	buffer_load_dword v4, off, s[24:27], 0 offset:36 ; 4-byte Folded Reload
	v_mul_f32_e32 v223, 0x3ee437d1, v104
	v_add_f32_e32 v135, v140, v135
	v_add_f32_e32 v140, v215, v152
	v_mul_f32_e32 v231, 0xbf7ba420, v106
	v_add_f32_e32 v135, v140, v135
	v_add_f32_e32 v140, v223, v161
	v_mul_f32_e32 v239, 0x3dbcf732, v108
	v_add_f32_e32 v135, v140, v135
	v_add_f32_e32 v140, v231, v169
	v_mul_f32_e32 v247, 0x3f6eb680, v110
	v_add_f32_e32 v135, v140, v135
	v_add_f32_e32 v140, v239, v177
	v_mul_f32_e32 v210, 0xbf1a4643, v113
	v_add_f32_e32 v135, v140, v135
	v_add_f32_e32 v140, v247, v183
	v_mul_f32_e32 v85, 0xbf59a7d5, v115
	v_add_f32_e32 v135, v140, v135
	v_add_f32_e32 v140, v210, v188
	v_mov_b32_e32 v194, v85
	v_mul_f32_e32 v121, 0x3ee437d1, v117
	v_add_f32_e32 v179, v140, v135
	v_mul_f32_e32 v135, 0xbf7ee86f, v99
	v_mul_f32_e32 v206, 0xbe3c28d5, v101
	v_fmac_f32_e32 v194, 0x3f06c442, v99
	v_mov_b32_e32 v195, v121
	v_sub_f32_e32 v130, v130, v135
	v_mul_f32_e32 v214, 0x3f763a35, v103
	v_add_f32_e32 v194, v53, v194
	v_fmac_f32_e32 v195, 0xbf65296c, v101
	v_mul_f32_e32 v235, 0x3dbcf732, v119
	v_add_f32_e32 v130, v53, v130
	v_sub_f32_e32 v135, v137, v206
	v_mul_f32_e32 v222, 0x3eb8f4ab, v105
	v_add_f32_e32 v194, v195, v194
	v_mov_b32_e32 v195, v235
	v_add_f32_e32 v130, v135, v130
	v_sub_f32_e32 v135, v147, v214
	v_mul_f32_e32 v230, 0xbf65296c, v107
	v_fmac_f32_e32 v195, 0x3f7ee86f, v103
	v_mul_f32_e32 v212, 0xbf1a4643, v123
	v_add_f32_e32 v130, v135, v130
	v_sub_f32_e32 v135, v155, v222
	v_mul_f32_e32 v238, 0xbf06c442, v109
	v_add_f32_e32 v194, v195, v194
	v_mov_b32_e32 v195, v212
	v_add_f32_e32 v130, v135, v130
	v_sub_f32_e32 v135, v162, v230
	v_mul_f32_e32 v246, 0x3f4c4adb, v111
	v_fmac_f32_e32 v195, 0xbf4c4adb, v105
	v_mul_f32_e32 v227, 0x3f6eb680, v127
	v_add_f32_e32 v130, v135, v130
	v_sub_f32_e32 v135, v170, v238
	v_add_f32_e32 v194, v195, v194
	v_mov_b32_e32 v195, v227
	v_mul_f32_e32 v202, 0x3f2c7751, v114
	v_add_f32_e32 v130, v135, v130
	v_sub_f32_e32 v135, v178, v246
	v_fmac_f32_e32 v195, 0x3eb8f4ab, v107
	v_mul_f32_e32 v220, 0xbf7ba420, v132
	v_add_f32_e32 v130, v135, v130
	v_sub_f32_e32 v135, v184, v202
	v_add_f32_e32 v194, v195, v194
	v_mov_b32_e32 v195, v220
	v_add_f32_e32 v135, v135, v130
	v_mul_f32_e32 v130, 0x3dbcf732, v98
	v_fmac_f32_e32 v195, 0x3e3c28d5, v109
	v_mul_f32_e32 v219, 0x3f3d2fb0, v139
	v_add_f32_e32 v128, v130, v128
	v_mul_f32_e32 v130, 0xbf7ba420, v100
	v_add_f32_e32 v194, v195, v194
	v_mov_b32_e32 v195, v219
	v_add_f32_e32 v128, v52, v128
	v_add_f32_e32 v130, v130, v134
	v_fmac_f32_e32 v195, 0xbf2c7751, v111
	v_mul_f32_e32 v243, 0xbe8c1d8e, v146
	v_add_f32_e32 v128, v130, v128
	v_mul_f32_e32 v130, 0xbe8c1d8e, v102
	v_mul_f32_e32 v236, 0x3f6eb680, v104
	v_add_f32_e32 v194, v195, v194
	s_waitcnt vmcnt(0)
	v_fma_f32 v4, v102, s19, -v4
	v_add_f32_e32 v2, v4, v2
	buffer_load_dword v4, off, s[24:27], 0 offset:40 ; 4-byte Folded Reload
	v_mov_b32_e32 v195, v243
	v_add_f32_e32 v130, v130, v142
	v_mul_f32_e32 v229, 0x3ee437d1, v106
	v_fmac_f32_e32 v195, 0x3f763a35, v114
	v_mul_f32_e32 v205, 0xbf06c442, v112
	v_add_f32_e32 v128, v130, v128
	v_add_f32_e32 v130, v236, v150
	v_mul_f32_e32 v237, 0xbf59a7d5, v108
	v_add_f32_e32 v195, v195, v194
	v_mov_b32_e32 v194, v205
	v_mul_f32_e32 v204, 0x3f65296c, v116
	v_add_f32_e32 v128, v130, v128
	v_add_f32_e32 v130, v229, v158
	v_mul_f32_e32 v245, 0xbf1a4643, v110
	v_fmac_f32_e32 v194, 0xbf59a7d5, v98
	v_mov_b32_e32 v86, v204
	v_add_f32_e32 v128, v130, v128
	v_add_f32_e32 v130, v237, v166
	;; [unrolled: 1-line block ×3, first 2 shown]
	v_fmac_f32_e32 v86, 0x3ee437d1, v100
	v_mul_f32_e32 v203, 0xbf7ee86f, v118
	v_mul_f32_e32 v211, 0x3f3d2fb0, v113
	v_add_f32_e32 v128, v130, v128
	v_add_f32_e32 v130, v245, v174
	;; [unrolled: 1-line block ×3, first 2 shown]
	v_mov_b32_e32 v194, v203
	v_add_f32_e32 v128, v130, v128
	v_add_f32_e32 v130, v211, v181
	v_fmac_f32_e32 v194, 0x3dbcf732, v102
	v_mul_f32_e32 v198, 0x3f4c4adb, v120
	v_add_f32_e32 v134, v130, v128
	v_mul_f32_e32 v128, 0xbf65296c, v99
	v_add_f32_e32 v86, v194, v86
	v_mov_b32_e32 v194, v198
	v_sub_f32_e32 v124, v124, v128
	v_mul_f32_e32 v128, 0xbf4c4adb, v101
	v_fmac_f32_e32 v194, 0xbf1a4643, v104
	v_mul_f32_e32 v197, 0xbeb8f4ab, v122
	v_add_f32_e32 v124, v53, v124
	v_sub_f32_e32 v128, v129, v128
	v_add_f32_e32 v86, v194, v86
	v_mov_b32_e32 v194, v197
	v_add_f32_e32 v124, v128, v124
	v_mul_f32_e32 v128, 0x3e3c28d5, v103
	v_fmac_f32_e32 v194, 0x3f6eb680, v106
	v_mul_f32_e32 v196, 0xbe3c28d5, v126
	v_sub_f32_e32 v128, v136, v128
	v_add_f32_e32 v86, v194, v86
	v_mov_b32_e32 v194, v196
	v_add_f32_e32 v124, v128, v124
	v_mul_f32_e32 v128, 0x3f763a35, v105
	v_fmac_f32_e32 v194, 0xbf7ba420, v108
	v_mul_f32_e32 v94, 0x3f2c7751, v131
	v_sub_f32_e32 v128, v144, v128
	v_add_f32_e32 v86, v194, v86
	v_mov_b32_e32 v194, v94
	v_add_f32_e32 v124, v128, v124
	v_mul_f32_e32 v128, 0x3f2c7751, v107
	v_fmac_f32_e32 v194, 0x3f3d2fb0, v110
	v_mul_f32_e32 v90, 0xbf763a35, v138
	v_sub_f32_e32 v128, v153, v128
	v_add_f32_e32 v86, v194, v86
	v_mov_b32_e32 v194, v90
	v_add_f32_e32 v124, v128, v124
	v_mul_f32_e32 v128, 0xbeb8f4ab, v109
	v_mul_f32_e32 v244, 0xbf7ee86f, v111
	v_fmac_f32_e32 v194, 0xbe8c1d8e, v113
	v_sub_f32_e32 v128, v160, v128
	v_add_f32_e32 v194, v194, v86
	v_mul_f32_e32 v86, 0xbf06c442, v114
	v_add_f32_e32 v124, v128, v124
	v_sub_f32_e32 v128, v168, v244
	v_add_f32_e32 v124, v128, v124
	v_sub_f32_e32 v86, v176, v86
	v_add_f32_e32 v129, v86, v124
	v_mul_f32_e32 v86, 0x3ee437d1, v98
	v_add_f32_e32 v86, v86, v251
	v_mul_f32_e32 v124, 0xbf1a4643, v100
	v_add_f32_e32 v86, v52, v86
	s_waitcnt vmcnt(0)
	v_fma_f32 v4, v104, s20, -v4
	v_add_f32_e32 v2, v4, v2
	buffer_load_dword v4, off, s[24:27], 0 offset:44 ; 4-byte Folded Reload
	v_add_f32_e32 v124, v124, v125
	v_add_f32_e32 v86, v124, v86
	v_mul_f32_e32 v124, 0xbf7ba420, v102
	v_add_f32_e32 v124, v124, v133
	v_add_f32_e32 v86, v124, v86
	v_mul_f32_e32 v124, 0xbe8c1d8e, v104
	;; [unrolled: 3-line block ×7, first 2 shown]
	v_mov_b32_e32 v124, v86
	v_mul_f32_e32 v130, 0x3dbcf732, v117
	v_fmac_f32_e32 v124, 0x3f2c7751, v99
	v_mov_b32_e32 v125, v130
	v_add_f32_e32 v124, v53, v124
	v_fmac_f32_e32 v125, 0x3f7ee86f, v101
	v_mul_f32_e32 v133, 0xbf1a4643, v119
	v_add_f32_e32 v124, v125, v124
	v_mov_b32_e32 v125, v133
	v_fmac_f32_e32 v125, 0x3f4c4adb, v103
	v_mul_f32_e32 v136, 0xbf7ba420, v123
	v_add_f32_e32 v124, v125, v124
	v_mov_b32_e32 v125, v136
	;; [unrolled: 4-line block ×7, first 2 shown]
	v_mul_f32_e32 v144, 0xbf7ee86f, v116
	v_fmac_f32_e32 v124, 0x3f3d2fb0, v98
	v_mov_b32_e32 v145, v144
	v_add_f32_e32 v124, v52, v124
	v_fmac_f32_e32 v145, 0x3dbcf732, v100
	v_add_f32_e32 v124, v145, v124
	v_mul_f32_e32 v145, 0xbf4c4adb, v118
	v_mov_b32_e32 v147, v145
	v_fmac_f32_e32 v147, 0xbf1a4643, v102
	v_add_f32_e32 v124, v147, v124
	v_mul_f32_e32 v147, 0xbe3c28d5, v120
	v_fmac_f32_e32 v85, 0xbf06c442, v99
	v_mov_b32_e32 v148, v147
	v_fmac_f32_e32 v121, 0x3f65296c, v101
	v_fmac_f32_e32 v148, 0xbf7ba420, v104
	v_fmac_f32_e32 v235, 0xbf7ee86f, v103
	v_add_f32_e32 v124, v148, v124
	v_mul_f32_e32 v148, 0x3f06c442, v122
	v_fmac_f32_e32 v212, 0x3f4c4adb, v105
	v_mov_b32_e32 v149, v148
	v_fmac_f32_e32 v227, 0xbeb8f4ab, v107
	v_fmac_f32_e32 v149, 0xbf59a7d5, v106
	;; [unrolled: 1-line block ×3, first 2 shown]
	v_add_f32_e32 v124, v149, v124
	v_mul_f32_e32 v149, 0x3f763a35, v126
	s_waitcnt vmcnt(0)
	v_fma_f32 v4, v106, s17, -v4
	v_add_f32_e32 v2, v4, v2
	v_fma_f32 v4, v108, s14, -v228
	v_add_f32_e32 v2, v4, v2
	;; [unrolled: 2-line block ×4, first 2 shown]
	v_add_f32_e32 v4, v53, v85
	v_add_f32_e32 v4, v121, v4
	;; [unrolled: 1-line block ×6, first 2 shown]
	v_fmac_f32_e32 v219, 0x3f2c7751, v111
	v_mov_b32_e32 v150, v149
	v_add_f32_e32 v4, v219, v4
	v_fmac_f32_e32 v243, 0xbf763a35, v114
	v_fmac_f32_e32 v150, 0xbe8c1d8e, v108
	v_add_f32_e32 v5, v243, v4
	v_fma_f32 v4, v98, s19, -v205
	v_add_f32_e32 v124, v150, v124
	v_mul_f32_e32 v150, 0x3f65296c, v131
	v_add_f32_e32 v4, v52, v4
	v_fma_f32 v54, v100, s14, -v204
	v_mov_b32_e32 v151, v150
	v_add_f32_e32 v4, v54, v4
	v_fma_f32 v54, v102, s15, -v203
	v_fmac_f32_e32 v151, 0x3ee437d1, v110
	v_add_f32_e32 v4, v54, v4
	v_fma_f32 v54, v104, s17, -v198
	v_add_f32_e32 v124, v151, v124
	v_mul_f32_e32 v151, 0x3eb8f4ab, v138
	v_add_f32_e32 v4, v54, v4
	v_fma_f32 v54, v106, s21, -v197
	v_mov_b32_e32 v152, v151
	v_add_f32_e32 v4, v54, v4
	v_fma_f32 v54, v108, s18, -v196
	v_fmac_f32_e32 v152, 0x3f6eb680, v113
	v_mul_f32_e32 v115, 0x3f6eb680, v115
	v_add_f32_e32 v4, v54, v4
	v_fma_f32 v54, v110, s20, -v94
	v_add_f32_e32 v124, v152, v124
	v_mov_b32_e32 v152, v115
	v_mul_f32_e32 v153, 0x3f3d2fb0, v117
	v_add_f32_e32 v4, v54, v4
	v_fma_f32 v54, v113, s16, -v90
	v_fmac_f32_e32 v86, 0xbf2c7751, v99
	v_fmac_f32_e32 v152, 0x3eb8f4ab, v99
	v_mov_b32_e32 v117, v153
	v_add_f32_e32 v4, v54, v4
	v_add_f32_e32 v54, v53, v86
	v_fmac_f32_e32 v130, 0xbf7ee86f, v101
	v_add_f32_e32 v152, v53, v152
	v_fmac_f32_e32 v117, 0x3f2c7751, v101
	v_mul_f32_e32 v119, 0x3ee437d1, v119
	v_add_f32_e32 v54, v130, v54
	v_fmac_f32_e32 v133, 0xbf4c4adb, v103
	v_add_f32_e32 v117, v117, v152
	v_mov_b32_e32 v152, v119
	v_add_f32_e32 v54, v133, v54
	v_fmac_f32_e32 v136, 0xbe3c28d5, v105
	v_fmac_f32_e32 v152, 0x3f65296c, v103
	v_mul_f32_e32 v123, 0x3dbcf732, v123
	v_add_f32_e32 v54, v136, v54
	v_fmac_f32_e32 v137, 0x3f06c442, v107
	v_add_f32_e32 v117, v152, v117
	v_mov_b32_e32 v152, v123
	v_add_f32_e32 v54, v137, v54
	v_fmac_f32_e32 v140, 0x3f763a35, v109
	;; [unrolled: 8-line block ×3, first 2 shown]
	v_fmac_f32_e32 v152, 0x3f763a35, v107
	v_mul_f32_e32 v132, 0xbf1a4643, v132
	v_add_f32_e32 v55, v142, v54
	v_fma_f32 v54, v98, s20, -v143
	v_add_f32_e32 v117, v152, v117
	v_mov_b32_e32 v152, v132
	v_add_f32_e32 v54, v52, v54
	v_fma_f32 v57, v100, s15, -v144
	v_fmac_f32_e32 v152, 0x3f4c4adb, v109
	v_mul_f32_e32 v139, 0xbf59a7d5, v139
	v_add_f32_e32 v54, v57, v54
	v_fma_f32 v57, v102, s17, -v145
	v_add_f32_e32 v117, v152, v117
	v_mov_b32_e32 v152, v139
	v_add_f32_e32 v54, v57, v54
	v_fma_f32 v57, v104, s18, -v147
	;; [unrolled: 8-line block ×4, first 2 shown]
	v_fmac_f32_e32 v152, 0x3f6eb680, v98
	v_mul_f32_e32 v154, 0xbf2c7751, v116
	v_add_f32_e32 v54, v57, v54
	v_fma_f32 v57, v98, s21, -v112
	v_add_f32_e32 v152, v52, v152
	v_mul_f32_e32 v118, 0xbf65296c, v118
	v_add_f32_e32 v52, v52, v57
	v_fma_f32 v57, v100, s20, -v154
	v_mul_f32_e32 v120, 0xbf7ee86f, v120
	v_add_f32_e32 v52, v57, v52
	v_fma_f32 v57, v102, s14, -v118
	;; [unrolled: 3-line block ×6, first 2 shown]
	v_add_f32_e32 v52, v57, v52
	v_fma_f32 v57, v113, s18, -v138
	v_add_f32_e32 v52, v57, v52
	buffer_load_dword v57, off, s[24:27], 0 ; 4-byte Folded Reload
	buffer_load_dword v58, off, s[24:27], 0 offset:16 ; 4-byte Folded Reload
	v_mov_b32_e32 v116, v154
	v_fmac_f32_e32 v116, 0x3f3d2fb0, v100
	v_add_f32_e32 v116, v116, v152
	v_mov_b32_e32 v152, v118
	v_fmac_f32_e32 v152, 0x3ee437d1, v102
	v_add_f32_e32 v116, v152, v116
	;; [unrolled: 3-line block ×7, first 2 shown]
	v_add_f32_e32 v1, v89, v1
	v_add_f32_e32 v0, v88, v0
	v_fmac_f32_e32 v115, 0xbeb8f4ab, v99
	v_add_f32_e32 v53, v53, v115
	v_fmac_f32_e32 v153, 0xbf2c7751, v101
	;; [unrolled: 2-line block ×7, first 2 shown]
	v_lshlrev_b32_e32 v90, 3, v91
	v_add_f32_e32 v53, v139, v53
	v_fmac_f32_e32 v146, 0xbe3c28d5, v114
	v_add_f32_e32 v53, v146, v53
	s_waitcnt vmcnt(0)
	v_lshl_add_u32 v57, v57, 3, v58
	ds_write2_b64 v57, v[0:1], v[116:117] offset1:1
	ds_write2_b64 v57, v[124:125], v[128:129] offset0:2 offset1:3
	ds_write2_b64 v57, v[134:135], v[179:180] offset0:4 offset1:5
	;; [unrolled: 1-line block ×3, first 2 shown]
	buffer_load_dword v0, off, s[24:27], 0 offset:20 ; 4-byte Folded Reload
	buffer_load_dword v1, off, s[24:27], 0 offset:24 ; 4-byte Folded Reload
	s_waitcnt vmcnt(0)
	ds_write2_b64 v57, v[0:1], v[2:3] offset0:8 offset1:9
	ds_write2_b64 v57, v[4:5], v[6:7] offset0:10 offset1:11
	ds_write2_b64 v57, v[63:64], v[65:66] offset0:12 offset1:13
	ds_write2_b64 v57, v[75:76], v[54:55] offset0:14 offset1:15
	ds_write_b64 v57, v[52:53] offset:128
.LBB0_17:
	s_or_b64 exec, exec, s[12:13]
	s_waitcnt lgkmcnt(0)
	s_barrier
	ds_read2_b64 v[0:3], v95 offset1:85
	ds_read2_b64 v[57:60], v95 offset0:170 offset1:255
	v_add_u32_e32 v53, 0x800, v95
	ds_read2_b64 v[67:70], v53 offset0:84 offset1:169
	v_add_u32_e32 v4, 0xc00, v95
	s_waitcnt lgkmcnt(2)
	v_mul_f32_e32 v54, v29, v3
	ds_read2_b64 v[71:74], v4 offset0:126 offset1:211
	v_fmac_f32_e32 v54, v28, v2
	v_mul_f32_e32 v2, v29, v2
	v_fma_f32 v28, v28, v3, -v2
	s_waitcnt lgkmcnt(2)
	v_mul_f32_e32 v29, v31, v58
	v_mul_f32_e32 v2, v31, v57
	v_add_u32_e32 v52, 0x1000, v95
	v_fmac_f32_e32 v29, v30, v57
	v_fma_f32 v30, v30, v58, -v2
	v_mul_f32_e32 v31, v25, v60
	v_mul_f32_e32 v2, v25, v59
	ds_read2_b64 v[77:80], v52 offset0:168 offset1:253
	ds_read_b64 v[4:5], v95 offset:6800
	v_fmac_f32_e32 v31, v24, v59
	v_fma_f32 v24, v24, v60, -v2
	s_waitcnt lgkmcnt(3)
	v_mul_f32_e32 v25, v27, v68
	v_mul_f32_e32 v2, v27, v67
	v_fmac_f32_e32 v25, v26, v67
	v_fma_f32 v26, v26, v68, -v2
	v_mul_f32_e32 v27, v21, v70
	v_mul_f32_e32 v2, v21, v69
	v_fmac_f32_e32 v27, v20, v69
	v_fma_f32 v20, v20, v70, -v2
	s_waitcnt lgkmcnt(2)
	v_mul_f32_e32 v21, v23, v72
	v_mul_f32_e32 v2, v23, v71
	v_fmac_f32_e32 v21, v22, v71
	v_fma_f32 v22, v22, v72, -v2
	v_mul_f32_e32 v23, v17, v74
	v_mul_f32_e32 v2, v17, v73
	v_fmac_f32_e32 v23, v16, v73
	v_fma_f32 v16, v16, v74, -v2
	s_waitcnt lgkmcnt(1)
	v_mul_f32_e32 v17, v19, v78
	v_mul_f32_e32 v2, v19, v77
	v_add_f32_e32 v3, v1, v28
	v_fmac_f32_e32 v17, v18, v77
	v_fma_f32 v18, v18, v78, -v2
	v_mul_f32_e32 v19, v33, v80
	v_mul_f32_e32 v2, v33, v79
	v_add_f32_e32 v3, v3, v30
	v_fmac_f32_e32 v19, v32, v79
	v_fma_f32 v32, v32, v80, -v2
	s_waitcnt lgkmcnt(0)
	v_mul_f32_e32 v33, v35, v5
	v_mul_f32_e32 v2, v35, v4
	v_add_f32_e32 v3, v3, v24
	v_fmac_f32_e32 v33, v34, v4
	v_fma_f32 v4, v34, v5, -v2
	v_add_f32_e32 v2, v0, v54
	v_add_f32_e32 v3, v3, v26
	;; [unrolled: 1-line block ×15, first 2 shown]
	v_sub_f32_e32 v4, v28, v4
	v_add_f32_e32 v2, v2, v17
	v_mul_f32_e32 v28, 0xbf0a6770, v4
	v_mul_f32_e32 v57, 0xbf68dda4, v4
	;; [unrolled: 1-line block ×5, first 2 shown]
	v_add_f32_e32 v2, v2, v19
	v_add_f32_e32 v5, v54, v33
	s_mov_b32 s14, 0x3f575c64
	v_mov_b32_e32 v35, v28
	s_mov_b32 s12, 0x3ed4b147
	v_mov_b32_e32 v58, v57
	s_mov_b32 s13, 0xbe11bafb
	v_mov_b32_e32 v62, v61
	s_mov_b32 s15, 0xbf27a4f4
	v_mov_b32_e32 v70, v69
	s_mov_b32 s16, 0xbf75a155
	v_mov_b32_e32 v73, v4
	v_add_f32_e32 v2, v2, v33
	v_sub_f32_e32 v33, v54, v33
	v_fmac_f32_e32 v35, 0x3f575c64, v5
	v_mul_f32_e32 v54, 0x3f575c64, v34
	v_fma_f32 v28, v5, s14, -v28
	v_fmac_f32_e32 v58, 0x3ed4b147, v5
	v_mul_f32_e32 v59, 0x3ed4b147, v34
	v_fma_f32 v57, v5, s12, -v57
	;; [unrolled: 3-line block ×5, first 2 shown]
	v_add_f32_e32 v35, v0, v35
	v_mov_b32_e32 v55, v54
	v_add_f32_e32 v28, v0, v28
	v_add_f32_e32 v58, v0, v58
	v_mov_b32_e32 v60, v59
	v_add_f32_e32 v57, v0, v57
	;; [unrolled: 3-line block ×5, first 2 shown]
	v_add_f32_e32 v4, v29, v19
	v_add_f32_e32 v5, v30, v32
	v_sub_f32_e32 v19, v29, v19
	v_sub_f32_e32 v29, v30, v32
	v_fmac_f32_e32 v55, 0x3f0a6770, v33
	v_fmac_f32_e32 v54, 0xbf0a6770, v33
	;; [unrolled: 1-line block ×10, first 2 shown]
	v_mul_f32_e32 v30, 0xbf68dda4, v29
	v_mul_f32_e32 v33, 0x3ed4b147, v5
	v_add_f32_e32 v55, v1, v55
	v_add_f32_e32 v54, v1, v54
	;; [unrolled: 1-line block ×10, first 2 shown]
	v_mov_b32_e32 v32, v30
	v_mov_b32_e32 v34, v33
	v_fma_f32 v30, v4, s12, -v30
	v_fmac_f32_e32 v33, 0xbf68dda4, v19
	v_fmac_f32_e32 v32, 0x3ed4b147, v4
	v_add_f32_e32 v28, v30, v28
	v_add_f32_e32 v30, v33, v54
	v_mul_f32_e32 v33, 0xbf4178ce, v29
	v_add_f32_e32 v32, v32, v35
	v_mov_b32_e32 v35, v33
	v_fma_f32 v33, v4, s15, -v33
	v_fmac_f32_e32 v34, 0x3f68dda4, v19
	v_fmac_f32_e32 v35, 0xbf27a4f4, v4
	v_mul_f32_e32 v54, 0xbf27a4f4, v5
	v_add_f32_e32 v33, v33, v57
	v_mul_f32_e32 v57, 0x3e903f40, v29
	v_add_f32_e32 v34, v34, v55
	v_add_f32_e32 v35, v35, v58
	v_mov_b32_e32 v55, v54
	v_fmac_f32_e32 v54, 0xbf4178ce, v19
	v_mov_b32_e32 v58, v57
	v_fma_f32 v57, v4, s16, -v57
	v_fmac_f32_e32 v55, 0x3f4178ce, v19
	v_add_f32_e32 v54, v54, v59
	v_fmac_f32_e32 v58, 0xbf75a155, v4
	v_mul_f32_e32 v59, 0xbf75a155, v5
	v_add_f32_e32 v57, v57, v61
	v_mul_f32_e32 v61, 0x3f7d64f0, v29
	v_add_f32_e32 v55, v55, v60
	v_add_f32_e32 v58, v58, v62
	v_mov_b32_e32 v60, v59
	v_fmac_f32_e32 v59, 0x3e903f40, v19
	v_mov_b32_e32 v62, v61
	v_add_f32_e32 v59, v59, v67
	v_fmac_f32_e32 v62, 0xbe11bafb, v4
	v_mul_f32_e32 v67, 0xbe11bafb, v5
	v_fma_f32 v61, v4, s13, -v61
	v_mul_f32_e32 v29, 0x3f0a6770, v29
	v_mul_f32_e32 v5, 0x3f575c64, v5
	v_fmac_f32_e32 v60, 0xbe903f40, v19
	v_add_f32_e32 v62, v62, v70
	v_add_f32_e32 v61, v61, v69
	v_mov_b32_e32 v69, v29
	v_mov_b32_e32 v70, v5
	v_fmac_f32_e32 v5, 0x3f0a6770, v19
	v_add_f32_e32 v60, v60, v68
	v_mov_b32_e32 v68, v67
	v_fmac_f32_e32 v69, 0x3f575c64, v4
	v_fma_f32 v4, v4, s14, -v29
	v_add_f32_e32 v1, v5, v1
	v_add_f32_e32 v5, v24, v18
	v_sub_f32_e32 v18, v24, v18
	v_fmac_f32_e32 v68, 0xbf7d64f0, v19
	v_fmac_f32_e32 v67, 0x3f7d64f0, v19
	;; [unrolled: 1-line block ×3, first 2 shown]
	v_add_f32_e32 v0, v4, v0
	v_add_f32_e32 v4, v31, v17
	v_sub_f32_e32 v17, v31, v17
	v_mul_f32_e32 v19, 0xbf7d64f0, v18
	v_mul_f32_e32 v29, 0xbe11bafb, v5
	v_mov_b32_e32 v24, v19
	v_mov_b32_e32 v31, v29
	v_fma_f32 v19, v4, s13, -v19
	v_fmac_f32_e32 v29, 0xbf7d64f0, v17
	v_add_f32_e32 v19, v19, v28
	v_add_f32_e32 v28, v29, v30
	v_mul_f32_e32 v29, 0x3e903f40, v18
	v_fmac_f32_e32 v24, 0xbe11bafb, v4
	v_mov_b32_e32 v30, v29
	v_fma_f32 v29, v4, s16, -v29
	v_add_f32_e32 v24, v24, v32
	v_fmac_f32_e32 v31, 0x3f7d64f0, v17
	v_fmac_f32_e32 v30, 0xbf75a155, v4
	v_mul_f32_e32 v32, 0xbf75a155, v5
	v_add_f32_e32 v29, v29, v33
	v_mul_f32_e32 v33, 0x3f68dda4, v18
	v_add_f32_e32 v31, v31, v34
	v_add_f32_e32 v30, v30, v35
	v_mov_b32_e32 v34, v32
	v_fmac_f32_e32 v32, 0x3e903f40, v17
	v_mov_b32_e32 v35, v33
	v_fma_f32 v33, v4, s12, -v33
	v_fmac_f32_e32 v34, 0xbe903f40, v17
	v_add_f32_e32 v32, v32, v54
	v_fmac_f32_e32 v35, 0x3ed4b147, v4
	v_mul_f32_e32 v54, 0x3ed4b147, v5
	v_add_f32_e32 v33, v33, v57
	v_mul_f32_e32 v57, 0xbf0a6770, v18
	v_add_f32_e32 v34, v34, v55
	v_add_f32_e32 v35, v35, v58
	v_mov_b32_e32 v55, v54
	v_fmac_f32_e32 v54, 0x3f68dda4, v17
	v_mov_b32_e32 v58, v57
	v_add_f32_e32 v54, v54, v59
	v_fmac_f32_e32 v58, 0x3f575c64, v4
	v_mul_f32_e32 v59, 0x3f575c64, v5
	v_mul_f32_e32 v5, 0xbf27a4f4, v5
	v_add_f32_e32 v58, v58, v62
	v_fma_f32 v57, v4, s14, -v57
	v_mul_f32_e32 v18, 0xbf4178ce, v18
	v_mov_b32_e32 v62, v5
	v_fmac_f32_e32 v5, 0xbf4178ce, v17
	v_fmac_f32_e32 v55, 0xbf68dda4, v17
	v_add_f32_e32 v57, v57, v61
	v_mov_b32_e32 v61, v18
	v_add_f32_e32 v1, v5, v1
	v_add_f32_e32 v5, v26, v16
	v_sub_f32_e32 v16, v26, v16
	v_add_f32_e32 v55, v55, v60
	v_mov_b32_e32 v60, v59
	v_fmac_f32_e32 v61, 0xbf27a4f4, v4
	v_fma_f32 v4, v4, s15, -v18
	v_mul_f32_e32 v18, 0xbf4178ce, v16
	v_fmac_f32_e32 v60, 0x3f0a6770, v17
	v_fmac_f32_e32 v59, 0xbf0a6770, v17
	;; [unrolled: 1-line block ×3, first 2 shown]
	v_add_f32_e32 v0, v4, v0
	v_add_f32_e32 v4, v25, v23
	v_sub_f32_e32 v17, v25, v23
	v_mov_b32_e32 v23, v18
	v_fmac_f32_e32 v23, 0xbf27a4f4, v4
	v_add_f32_e32 v23, v23, v24
	v_mul_f32_e32 v24, 0xbf27a4f4, v5
	v_mov_b32_e32 v25, v24
	v_fma_f32 v18, v4, s15, -v18
	v_fmac_f32_e32 v24, 0xbf4178ce, v17
	v_add_f32_e32 v18, v18, v19
	v_add_f32_e32 v19, v24, v28
	v_mul_f32_e32 v24, 0x3f7d64f0, v16
	v_mov_b32_e32 v26, v24
	v_fma_f32 v24, v4, s13, -v24
	v_fmac_f32_e32 v25, 0x3f4178ce, v17
	v_fmac_f32_e32 v26, 0xbe11bafb, v4
	v_mul_f32_e32 v28, 0xbe11bafb, v5
	v_add_f32_e32 v24, v24, v29
	v_mul_f32_e32 v29, 0xbf0a6770, v16
	v_add_f32_e32 v25, v25, v31
	v_add_f32_e32 v26, v26, v30
	v_mov_b32_e32 v30, v28
	v_fmac_f32_e32 v28, 0x3f7d64f0, v17
	v_mov_b32_e32 v31, v29
	v_fma_f32 v29, v4, s14, -v29
	v_fmac_f32_e32 v30, 0xbf7d64f0, v17
	v_add_f32_e32 v28, v28, v32
	v_fmac_f32_e32 v31, 0x3f575c64, v4
	v_mul_f32_e32 v32, 0x3f575c64, v5
	v_add_f32_e32 v29, v29, v33
	v_mul_f32_e32 v33, 0xbe903f40, v16
	v_add_f32_e32 v30, v30, v34
	v_add_f32_e32 v31, v31, v35
	v_mov_b32_e32 v34, v32
	v_fmac_f32_e32 v32, 0xbf0a6770, v17
	v_mov_b32_e32 v35, v33
	v_add_f32_e32 v32, v32, v54
	v_fmac_f32_e32 v35, 0xbf75a155, v4
	v_mul_f32_e32 v54, 0xbf75a155, v5
	v_mul_f32_e32 v5, 0x3ed4b147, v5
	v_add_f32_e32 v70, v70, v74
	v_fmac_f32_e32 v34, 0x3f0a6770, v17
	v_add_f32_e32 v35, v35, v58
	v_fma_f32 v33, v4, s16, -v33
	v_mul_f32_e32 v16, 0x3f68dda4, v16
	v_mov_b32_e32 v58, v5
	v_add_f32_e32 v68, v68, v72
	v_add_f32_e32 v67, v67, v71
	;; [unrolled: 1-line block ×5, first 2 shown]
	v_mov_b32_e32 v55, v54
	v_add_f32_e32 v33, v33, v57
	v_mov_b32_e32 v57, v16
	v_fmac_f32_e32 v58, 0xbf68dda4, v17
	v_add_f32_e32 v60, v60, v68
	v_add_f32_e32 v59, v59, v67
	;; [unrolled: 1-line block ×3, first 2 shown]
	v_fmac_f32_e32 v55, 0x3e903f40, v17
	v_fmac_f32_e32 v54, 0xbe903f40, v17
	;; [unrolled: 1-line block ×3, first 2 shown]
	v_add_f32_e32 v58, v58, v62
	v_fma_f32 v4, v4, s12, -v16
	v_fmac_f32_e32 v5, 0x3f68dda4, v17
	v_add_f32_e32 v62, v20, v22
	v_sub_f32_e32 v68, v20, v22
	v_add_f32_e32 v55, v55, v60
	v_add_f32_e32 v54, v54, v59
	;; [unrolled: 1-line block ×6, first 2 shown]
	v_sub_f32_e32 v67, v27, v21
	v_mul_f32_e32 v4, 0xbe903f40, v68
	v_mul_f32_e32 v5, 0xbf75a155, v62
	v_mov_b32_e32 v0, v4
	v_mov_b32_e32 v1, v5
	v_fma_f32 v4, v61, s16, -v4
	v_fmac_f32_e32 v5, 0xbe903f40, v67
	v_add_f32_e32 v4, v4, v18
	v_add_f32_e32 v5, v5, v19
	v_mul_f32_e32 v18, 0x3f0a6770, v68
	v_mul_f32_e32 v19, 0x3f575c64, v62
	;; [unrolled: 1-line block ×3, first 2 shown]
	v_mov_b32_e32 v16, v18
	v_mov_b32_e32 v17, v19
	;; [unrolled: 1-line block ×3, first 2 shown]
	v_fmac_f32_e32 v0, 0xbf75a155, v61
	v_fmac_f32_e32 v16, 0x3f575c64, v61
	;; [unrolled: 1-line block ×4, first 2 shown]
	v_add_f32_e32 v0, v0, v23
	v_fmac_f32_e32 v1, 0x3e903f40, v67
	v_add_f32_e32 v16, v16, v26
	v_add_f32_e32 v17, v17, v30
	v_fma_f32 v18, v61, s14, -v18
	v_fmac_f32_e32 v19, 0x3f0a6770, v67
	v_add_f32_e32 v20, v20, v31
	v_mul_f32_e32 v23, 0xbf27a4f4, v62
	v_fma_f32 v22, v61, s15, -v22
	v_mul_f32_e32 v26, 0x3f68dda4, v68
	v_mul_f32_e32 v27, 0x3ed4b147, v62
	;; [unrolled: 1-line block ×4, first 2 shown]
	v_add_f32_e32 v1, v1, v25
	v_add_f32_e32 v18, v18, v24
	;; [unrolled: 1-line block ×3, first 2 shown]
	v_mov_b32_e32 v21, v23
	v_add_f32_e32 v22, v22, v29
	v_mov_b32_e32 v24, v26
	v_mov_b32_e32 v25, v27
	;; [unrolled: 1-line block ×4, first 2 shown]
	v_fmac_f32_e32 v21, 0x3f4178ce, v67
	v_fmac_f32_e32 v23, 0xbf4178ce, v67
	v_fmac_f32_e32 v24, 0x3ed4b147, v61
	v_fmac_f32_e32 v25, 0xbf68dda4, v67
	v_fma_f32 v26, v61, s12, -v26
	v_fmac_f32_e32 v27, 0x3f68dda4, v67
	v_fmac_f32_e32 v28, 0xbe11bafb, v61
	;; [unrolled: 1-line block ×3, first 2 shown]
	v_fma_f32 v30, v61, s13, -v30
	v_fmac_f32_e32 v31, 0xbf7d64f0, v67
	v_add_f32_e32 v21, v21, v34
	v_add_f32_e32 v23, v23, v32
	;; [unrolled: 1-line block ×10, first 2 shown]
	v_add_u32_e32 v33, 0x400, v95
	s_barrier
	ds_write2_b64 v96, v[2:3], v[0:1] offset1:17
	ds_write2_b64 v96, v[16:17], v[20:21] offset0:34 offset1:51
	ds_write2_b64 v96, v[24:25], v[28:29] offset0:68 offset1:85
	;; [unrolled: 1-line block ×4, first 2 shown]
	ds_write_b64 v96, v[4:5] offset:1360
	s_waitcnt lgkmcnt(0)
	s_barrier
	ds_read2_b64 v[0:3], v95 offset1:85
	ds_read2_b64 v[28:31], v33 offset0:59 offset1:144
	ds_read2_b64 v[24:27], v53 offset0:118 offset1:203
	;; [unrolled: 1-line block ×3, first 2 shown]
	v_add_u32_e32 v16, 0x1400, v95
	ds_read2_b64 v[16:19], v16 offset0:108 offset1:193
	v_add_u32_e32 v32, 0x2a8, v97
	s_and_saveexec_b64 s[12:13], s[2:3]
	s_cbranch_execz .LBB0_19
; %bb.18:
	ds_read2_b64 v[4:7], v33 offset0:42 offset1:229
	ds_read2_b64 v[63:66], v52 offset0:32 offset1:219
	ds_read_b64 v[75:76], v95 offset:7344
.LBB0_19:
	s_or_b64 exec, exec, s[12:13]
	s_waitcnt lgkmcnt(3)
	v_mul_f32_e32 v33, v45, v29
	v_fmac_f32_e32 v33, v44, v28
	v_mul_f32_e32 v28, v45, v28
	v_fma_f32 v28, v44, v29, -v28
	s_waitcnt lgkmcnt(2)
	v_mul_f32_e32 v29, v47, v25
	v_fmac_f32_e32 v29, v46, v24
	v_mul_f32_e32 v24, v47, v24
	v_fma_f32 v24, v46, v25, -v24
	;; [unrolled: 5-line block ×4, first 2 shown]
	v_mul_f32_e32 v16, v49, v30
	v_fma_f32 v37, v48, v31, -v16
	v_mul_f32_e32 v16, v51, v26
	v_fma_f32 v38, v50, v27, -v16
	v_mul_f32_e32 v39, v41, v23
	v_mul_f32_e32 v16, v41, v22
	;; [unrolled: 1-line block ×3, first 2 shown]
	v_add_f32_e32 v17, v29, v25
	v_fmac_f32_e32 v39, v40, v22
	v_fma_f32 v40, v40, v23, -v16
	v_fmac_f32_e32 v41, v42, v18
	v_mul_f32_e32 v16, v43, v18
	v_fma_f32 v18, -0.5, v17, v0
	v_sub_f32_e32 v17, v28, v35
	v_mov_b32_e32 v20, v18
	v_fma_f32 v42, v42, v19, -v16
	v_fmac_f32_e32 v20, 0xbf737871, v17
	v_sub_f32_e32 v19, v24, v34
	v_sub_f32_e32 v22, v33, v29
	;; [unrolled: 1-line block ×3, first 2 shown]
	v_fmac_f32_e32 v18, 0x3f737871, v17
	v_fmac_f32_e32 v20, 0xbf167918, v19
	v_add_f32_e32 v22, v22, v23
	v_fmac_f32_e32 v18, 0x3f167918, v19
	v_fmac_f32_e32 v20, 0x3e9e377a, v22
	;; [unrolled: 1-line block ×3, first 2 shown]
	v_add_f32_e32 v22, v33, v21
	v_add_f32_e32 v16, v0, v33
	v_fma_f32 v0, -0.5, v22, v0
	v_mov_b32_e32 v22, v0
	v_mul_f32_e32 v36, v49, v31
	v_mul_f32_e32 v31, v51, v27
	v_add_f32_e32 v16, v16, v29
	v_fmac_f32_e32 v22, 0x3f737871, v19
	v_fmac_f32_e32 v0, 0xbf737871, v19
	v_add_f32_e32 v19, v24, v34
	v_fmac_f32_e32 v31, v50, v26
	v_add_f32_e32 v16, v16, v25
	v_sub_f32_e32 v23, v29, v33
	v_sub_f32_e32 v26, v25, v21
	v_fma_f32 v19, -0.5, v19, v1
	v_add_f32_e32 v16, v16, v21
	v_fmac_f32_e32 v22, 0xbf167918, v17
	v_add_f32_e32 v23, v23, v26
	v_fmac_f32_e32 v0, 0x3f167918, v17
	v_sub_f32_e32 v26, v33, v21
	v_mov_b32_e32 v21, v19
	v_fmac_f32_e32 v22, 0x3e9e377a, v23
	v_fmac_f32_e32 v0, 0x3e9e377a, v23
	v_fmac_f32_e32 v21, 0x3f737871, v26
	v_sub_f32_e32 v25, v29, v25
	v_sub_f32_e32 v23, v28, v24
	;; [unrolled: 1-line block ×3, first 2 shown]
	v_fmac_f32_e32 v19, 0xbf737871, v26
	v_fmac_f32_e32 v21, 0x3f167918, v25
	v_add_f32_e32 v23, v23, v27
	v_fmac_f32_e32 v19, 0xbf167918, v25
	v_fmac_f32_e32 v21, 0x3e9e377a, v23
	;; [unrolled: 1-line block ×3, first 2 shown]
	v_add_f32_e32 v23, v28, v35
	v_add_f32_e32 v17, v1, v28
	v_fma_f32 v1, -0.5, v23, v1
	v_mov_b32_e32 v23, v1
	v_fmac_f32_e32 v23, 0xbf737871, v25
	v_fmac_f32_e32 v1, 0x3f737871, v25
	v_add_f32_e32 v25, v31, v39
	v_fmac_f32_e32 v23, 0x3f167918, v26
	v_fmac_f32_e32 v1, 0xbf167918, v26
	v_fma_f32 v26, -0.5, v25, v2
	v_fmac_f32_e32 v36, v48, v30
	v_add_f32_e32 v17, v17, v24
	v_sub_f32_e32 v24, v24, v28
	v_sub_f32_e32 v27, v34, v35
	;; [unrolled: 1-line block ×3, first 2 shown]
	v_mov_b32_e32 v28, v26
	v_add_f32_e32 v24, v24, v27
	v_fmac_f32_e32 v28, 0xbf737871, v25
	v_sub_f32_e32 v27, v38, v40
	v_sub_f32_e32 v29, v36, v31
	;; [unrolled: 1-line block ×3, first 2 shown]
	v_fmac_f32_e32 v26, 0x3f737871, v25
	v_fmac_f32_e32 v28, 0xbf167918, v27
	v_add_f32_e32 v29, v29, v30
	v_fmac_f32_e32 v26, 0x3f167918, v27
	v_fmac_f32_e32 v28, 0x3e9e377a, v29
	;; [unrolled: 1-line block ×3, first 2 shown]
	v_add_f32_e32 v29, v36, v41
	v_fmac_f32_e32 v23, 0x3e9e377a, v24
	v_fmac_f32_e32 v1, 0x3e9e377a, v24
	v_add_f32_e32 v24, v2, v36
	v_fma_f32 v2, -0.5, v29, v2
	v_mov_b32_e32 v30, v2
	v_fmac_f32_e32 v30, 0x3f737871, v27
	v_sub_f32_e32 v29, v31, v36
	v_sub_f32_e32 v33, v39, v41
	v_fmac_f32_e32 v2, 0xbf737871, v27
	v_add_f32_e32 v27, v38, v40
	v_fmac_f32_e32 v30, 0xbf167918, v25
	v_add_f32_e32 v29, v29, v33
	v_fmac_f32_e32 v2, 0x3f167918, v25
	v_fma_f32 v27, -0.5, v27, v3
	v_add_f32_e32 v17, v17, v34
	v_fmac_f32_e32 v30, 0x3e9e377a, v29
	v_fmac_f32_e32 v2, 0x3e9e377a, v29
	v_sub_f32_e32 v33, v36, v41
	v_mov_b32_e32 v29, v27
	v_add_f32_e32 v17, v17, v35
	v_add_f32_e32 v24, v24, v31
	v_fmac_f32_e32 v29, 0x3f737871, v33
	v_sub_f32_e32 v34, v31, v39
	v_sub_f32_e32 v31, v37, v38
	;; [unrolled: 1-line block ×3, first 2 shown]
	v_fmac_f32_e32 v27, 0xbf737871, v33
	v_fmac_f32_e32 v29, 0x3f167918, v34
	v_add_f32_e32 v31, v31, v35
	v_fmac_f32_e32 v27, 0xbf167918, v34
	v_fmac_f32_e32 v29, 0x3e9e377a, v31
	;; [unrolled: 1-line block ×3, first 2 shown]
	v_add_f32_e32 v31, v37, v42
	v_add_f32_e32 v25, v3, v37
	v_fmac_f32_e32 v3, -0.5, v31
	v_mov_b32_e32 v31, v3
	v_fmac_f32_e32 v31, 0xbf737871, v34
	v_fmac_f32_e32 v3, 0x3f737871, v34
	v_add_f32_e32 v25, v25, v38
	v_fmac_f32_e32 v31, 0x3f167918, v33
	v_sub_f32_e32 v35, v38, v37
	v_sub_f32_e32 v36, v40, v42
	v_fmac_f32_e32 v3, 0xbf167918, v33
	v_add_u32_e32 v33, 0x400, v56
	v_add_f32_e32 v24, v24, v39
	v_add_f32_e32 v25, v25, v40
	;; [unrolled: 1-line block ×3, first 2 shown]
	ds_write2_b64 v33, v[20:21], v[22:23] offset0:59 offset1:246
	v_add_u32_e32 v20, 0x1000, v56
	v_add_f32_e32 v24, v24, v41
	v_add_f32_e32 v25, v25, v42
	v_fmac_f32_e32 v31, 0x3e9e377a, v35
	ds_write2_b64 v20, v[0:1], v[18:19] offset0:49 offset1:236
	ds_write2_b64 v56, v[16:17], v[24:25] offset1:85
	v_add_u32_e32 v0, 0x400, v32
	v_fmac_f32_e32 v3, 0x3e9e377a, v35
	ds_write2_b64 v0, v[28:29], v[30:31] offset0:59 offset1:246
	v_add_u32_e32 v0, 0x1000, v32
	ds_write2_b64 v0, v[2:3], v[26:27] offset0:49 offset1:236
	v_lshl_add_u32 v0, v92, 3, v90
	s_and_saveexec_b64 s[12:13], s[2:3]
	s_cbranch_execz .LBB0_21
; %bb.20:
	v_mul_f32_e32 v1, v15, v63
	v_fma_f32 v3, v14, v64, -v1
	v_mul_f32_e32 v1, v13, v6
	v_mul_f32_e32 v16, v9, v65
	;; [unrolled: 1-line block ×3, first 2 shown]
	v_fma_f32 v1, v12, v7, -v1
	v_fma_f32 v16, v8, v66, -v16
	;; [unrolled: 1-line block ×3, first 2 shown]
	v_mul_f32_e32 v13, v13, v7
	v_mul_f32_e32 v11, v11, v76
	v_fmac_f32_e32 v13, v12, v6
	v_fmac_f32_e32 v11, v10, v75
	v_sub_f32_e32 v6, v1, v3
	v_sub_f32_e32 v10, v17, v16
	;; [unrolled: 1-line block ×4, first 2 shown]
	v_mul_f32_e32 v15, v15, v64
	v_add_f32_e32 v12, v6, v10
	v_add_f32_e32 v6, v3, v16
	;; [unrolled: 1-line block ×3, first 2 shown]
	v_fmac_f32_e32 v15, v14, v63
	v_mul_f32_e32 v14, v9, v66
	v_add_f32_e32 v2, v1, v17
	v_fma_f32 v6, -0.5, v6, v5
	v_fmac_f32_e32 v14, v8, v65
	v_fma_f32 v2, -0.5, v2, v5
	v_sub_f32_e32 v7, v13, v11
	v_mov_b32_e32 v10, v6
	v_add_f32_e32 v5, v5, v1
	v_sub_f32_e32 v9, v15, v14
	v_fmac_f32_e32 v10, 0xbf737871, v7
	v_fmac_f32_e32 v6, 0x3f737871, v7
	v_add_f32_e32 v5, v5, v3
	v_mov_b32_e32 v8, v2
	v_fmac_f32_e32 v10, 0xbf167918, v9
	v_fmac_f32_e32 v6, 0x3f167918, v9
	v_add_f32_e32 v5, v5, v16
	v_fmac_f32_e32 v8, 0x3f737871, v9
	v_fmac_f32_e32 v2, 0xbf737871, v9
	;; [unrolled: 1-line block ×4, first 2 shown]
	v_add_f32_e32 v12, v5, v17
	v_sub_f32_e32 v17, v1, v17
	v_add_f32_e32 v1, v13, v11
	v_fmac_f32_e32 v8, 0xbf167918, v7
	v_fmac_f32_e32 v2, 0x3f167918, v7
	v_sub_f32_e32 v5, v15, v13
	v_sub_f32_e32 v7, v14, v11
	v_fma_f32 v1, -0.5, v1, v4
	v_add_f32_e32 v5, v5, v7
	v_sub_f32_e32 v3, v3, v16
	v_mov_b32_e32 v7, v1
	v_fmac_f32_e32 v7, 0xbf737871, v3
	v_fmac_f32_e32 v1, 0x3f737871, v3
	;; [unrolled: 1-line block ×6, first 2 shown]
	v_sub_f32_e32 v5, v13, v15
	v_sub_f32_e32 v9, v11, v14
	v_add_f32_e32 v16, v5, v9
	v_add_f32_e32 v5, v15, v14
	v_fma_f32 v5, -0.5, v5, v4
	v_mov_b32_e32 v9, v5
	v_fmac_f32_e32 v9, 0x3f737871, v17
	v_fmac_f32_e32 v5, 0xbf737871, v17
	;; [unrolled: 1-line block ×4, first 2 shown]
	v_add_f32_e32 v3, v4, v13
	v_add_f32_e32 v3, v3, v15
	;; [unrolled: 1-line block ×3, first 2 shown]
	v_fmac_f32_e32 v5, 0x3e9e377a, v16
	v_add_f32_e32 v11, v3, v11
	v_add_u32_e32 v3, 0x400, v0
	v_fmac_f32_e32 v8, 0x3e9e377a, v18
	v_fmac_f32_e32 v2, 0x3e9e377a, v18
	ds_write2_b64 v3, v[11:12], v[5:6] offset0:42 offset1:229
	v_add_u32_e32 v3, 0x1000, v0
	v_fmac_f32_e32 v9, 0x3e9e377a, v16
	ds_write2_b64 v3, v[1:2], v[7:8] offset0:32 offset1:219
	ds_write_b64 v0, v[9:10] offset:7344
.LBB0_21:
	s_or_b64 exec, exec, s[12:13]
	s_waitcnt lgkmcnt(0)
	s_barrier
	s_and_b64 exec, exec, s[0:1]
	s_cbranch_execz .LBB0_23
; %bb.22:
	global_load_dwordx2 v[1:2], v90, s[8:9]
	ds_read_b64 v[5:6], v56
	v_mad_u64_u32 v[3:4], s[0:1], s6, v87, 0
	v_mad_u64_u32 v[7:8], s[0:1], s4, v91, 0
	s_waitcnt lgkmcnt(0)
	v_mad_u64_u32 v[9:10], s[2:3], s7, v87, v[4:5]
	s_mov_b32 s0, 0xfa401186
	s_mov_b32 s1, 0x3f5185e2
	v_mad_u64_u32 v[10:11], s[2:3], s5, v91, v[8:9]
	v_mov_b32_e32 v12, s11
	s_mul_i32 s3, s5, 0x1b8
	v_mov_b32_e32 v8, v10
	v_lshlrev_b64 v[7:8], 3, v[7:8]
	s_mul_hi_u32 s5, s4, 0x1b8
	s_mul_i32 s2, s4, 0x1b8
	s_add_i32 s3, s5, s3
	s_movk_i32 s4, 0x1000
	s_waitcnt vmcnt(0)
	v_mul_f32_e32 v4, v6, v2
	v_mul_f32_e32 v2, v5, v2
	v_fmac_f32_e32 v4, v5, v1
	v_fma_f32 v5, v1, v6, -v2
	v_cvt_f64_f32_e32 v[1:2], v4
	v_cvt_f64_f32_e32 v[5:6], v5
	v_mov_b32_e32 v4, v9
	v_lshlrev_b64 v[3:4], 3, v[3:4]
	v_mul_f64 v[1:2], v[1:2], s[0:1]
	v_mul_f64 v[5:6], v[5:6], s[0:1]
	v_add_co_u32_e32 v3, vcc, s10, v3
	v_addc_co_u32_e32 v4, vcc, v12, v4, vcc
	v_mov_b32_e32 v12, s3
	v_cvt_f32_f64_e32 v1, v[1:2]
	v_cvt_f32_f64_e32 v2, v[5:6]
	v_add_co_u32_e32 v5, vcc, v3, v7
	v_addc_co_u32_e32 v6, vcc, v4, v8, vcc
	global_store_dwordx2 v[5:6], v[1:2], off
	global_load_dwordx2 v[7:8], v90, s[8:9] offset:440
	ds_read2_b64 v[1:4], v0 offset0:55 offset1:110
	v_add_co_u32_e32 v5, vcc, s2, v5
	s_waitcnt vmcnt(0) lgkmcnt(0)
	v_mul_f32_e32 v9, v2, v8
	v_mul_f32_e32 v8, v1, v8
	v_fmac_f32_e32 v9, v1, v7
	v_fma_f32 v7, v7, v2, -v8
	v_cvt_f64_f32_e32 v[1:2], v9
	v_cvt_f64_f32_e32 v[7:8], v7
	v_mov_b32_e32 v9, s3
	v_addc_co_u32_e32 v6, vcc, v6, v9, vcc
	v_mul_f64 v[1:2], v[1:2], s[0:1]
	v_mul_f64 v[7:8], v[7:8], s[0:1]
	v_cvt_f32_f64_e32 v1, v[1:2]
	v_cvt_f32_f64_e32 v2, v[7:8]
	global_store_dwordx2 v[5:6], v[1:2], off
	global_load_dwordx2 v[1:2], v90, s[8:9] offset:880
	v_add_co_u32_e32 v5, vcc, s2, v5
	s_waitcnt vmcnt(0)
	v_mul_f32_e32 v7, v4, v2
	v_mul_f32_e32 v2, v3, v2
	v_fmac_f32_e32 v7, v3, v1
	v_fma_f32 v3, v1, v4, -v2
	v_cvt_f64_f32_e32 v[1:2], v7
	v_cvt_f64_f32_e32 v[3:4], v3
	v_mov_b32_e32 v7, s3
	v_addc_co_u32_e32 v6, vcc, v6, v7, vcc
	v_mul_f64 v[1:2], v[1:2], s[0:1]
	v_mul_f64 v[3:4], v[3:4], s[0:1]
	v_cvt_f32_f64_e32 v1, v[1:2]
	v_cvt_f32_f64_e32 v2, v[3:4]
	global_store_dwordx2 v[5:6], v[1:2], off
	global_load_dwordx2 v[7:8], v90, s[8:9] offset:1320
	ds_read2_b64 v[1:4], v0 offset0:165 offset1:220
	v_add_co_u32_e32 v5, vcc, s2, v5
	s_waitcnt vmcnt(0) lgkmcnt(0)
	v_mul_f32_e32 v9, v2, v8
	v_mul_f32_e32 v8, v1, v8
	v_fmac_f32_e32 v9, v1, v7
	v_fma_f32 v7, v7, v2, -v8
	v_cvt_f64_f32_e32 v[1:2], v9
	v_cvt_f64_f32_e32 v[7:8], v7
	v_mov_b32_e32 v9, s3
	v_addc_co_u32_e32 v6, vcc, v6, v9, vcc
	v_mul_f64 v[1:2], v[1:2], s[0:1]
	v_mul_f64 v[7:8], v[7:8], s[0:1]
	v_add_u32_e32 v9, 0x800, v0
	v_cvt_f32_f64_e32 v1, v[1:2]
	v_cvt_f32_f64_e32 v2, v[7:8]
	global_store_dwordx2 v[5:6], v[1:2], off
	global_load_dwordx2 v[1:2], v90, s[8:9] offset:1760
	v_add_co_u32_e32 v5, vcc, s2, v5
	s_waitcnt vmcnt(0)
	v_mul_f32_e32 v7, v4, v2
	v_mul_f32_e32 v2, v3, v2
	v_fmac_f32_e32 v7, v3, v1
	v_fma_f32 v3, v1, v4, -v2
	v_cvt_f64_f32_e32 v[1:2], v7
	v_cvt_f64_f32_e32 v[3:4], v3
	v_mov_b32_e32 v7, s3
	v_addc_co_u32_e32 v6, vcc, v6, v7, vcc
	v_mul_f64 v[1:2], v[1:2], s[0:1]
	v_mul_f64 v[3:4], v[3:4], s[0:1]
	v_cvt_f32_f64_e32 v1, v[1:2]
	v_cvt_f32_f64_e32 v2, v[3:4]
	global_store_dwordx2 v[5:6], v[1:2], off
	global_load_dwordx2 v[7:8], v90, s[8:9] offset:2200
	ds_read2_b64 v[1:4], v9 offset0:19 offset1:74
	v_add_co_u32_e32 v5, vcc, s2, v5
	s_waitcnt vmcnt(0) lgkmcnt(0)
	v_mul_f32_e32 v10, v2, v8
	v_mul_f32_e32 v8, v1, v8
	v_fmac_f32_e32 v10, v1, v7
	v_fma_f32 v7, v7, v2, -v8
	v_cvt_f64_f32_e32 v[1:2], v10
	v_cvt_f64_f32_e32 v[7:8], v7
	v_mov_b32_e32 v10, s3
	v_addc_co_u32_e32 v6, vcc, v6, v10, vcc
	v_mul_f64 v[1:2], v[1:2], s[0:1]
	v_mul_f64 v[7:8], v[7:8], s[0:1]
	v_cvt_f32_f64_e32 v1, v[1:2]
	v_cvt_f32_f64_e32 v2, v[7:8]
	global_store_dwordx2 v[5:6], v[1:2], off
	global_load_dwordx2 v[1:2], v90, s[8:9] offset:2640
	v_add_co_u32_e32 v5, vcc, s2, v5
	s_waitcnt vmcnt(0)
	v_mul_f32_e32 v7, v4, v2
	v_mul_f32_e32 v2, v3, v2
	v_fmac_f32_e32 v7, v3, v1
	v_fma_f32 v3, v1, v4, -v2
	v_cvt_f64_f32_e32 v[1:2], v7
	v_cvt_f64_f32_e32 v[3:4], v3
	v_mov_b32_e32 v7, s3
	v_addc_co_u32_e32 v6, vcc, v6, v7, vcc
	v_mul_f64 v[1:2], v[1:2], s[0:1]
	v_mul_f64 v[3:4], v[3:4], s[0:1]
	v_cvt_f32_f64_e32 v1, v[1:2]
	v_cvt_f32_f64_e32 v2, v[3:4]
	global_store_dwordx2 v[5:6], v[1:2], off
	global_load_dwordx2 v[7:8], v90, s[8:9] offset:3080
	ds_read2_b64 v[1:4], v9 offset0:129 offset1:184
	v_add_co_u32_e32 v5, vcc, s2, v5
	s_waitcnt vmcnt(0) lgkmcnt(0)
	v_mul_f32_e32 v9, v2, v8
	v_mul_f32_e32 v8, v1, v8
	v_fmac_f32_e32 v9, v1, v7
	v_fma_f32 v7, v7, v2, -v8
	v_cvt_f64_f32_e32 v[1:2], v9
	v_cvt_f64_f32_e32 v[7:8], v7
	v_mov_b32_e32 v9, s3
	v_addc_co_u32_e32 v6, vcc, v6, v9, vcc
	v_mul_f64 v[1:2], v[1:2], s[0:1]
	v_mul_f64 v[7:8], v[7:8], s[0:1]
	v_cvt_f32_f64_e32 v1, v[1:2]
	v_cvt_f32_f64_e32 v2, v[7:8]
	global_store_dwordx2 v[5:6], v[1:2], off
	global_load_dwordx2 v[1:2], v90, s[8:9] offset:3520
	v_add_co_u32_e32 v5, vcc, s2, v5
	s_waitcnt vmcnt(0)
	v_mul_f32_e32 v7, v4, v2
	v_mul_f32_e32 v2, v3, v2
	v_fmac_f32_e32 v7, v3, v1
	v_fma_f32 v3, v1, v4, -v2
	v_cvt_f64_f32_e32 v[1:2], v7
	v_cvt_f64_f32_e32 v[3:4], v3
	v_mov_b32_e32 v7, s3
	v_addc_co_u32_e32 v6, vcc, v6, v7, vcc
	v_mul_f64 v[1:2], v[1:2], s[0:1]
	v_mul_f64 v[3:4], v[3:4], s[0:1]
	v_add_co_u32_e32 v10, vcc, s8, v90
	v_cvt_f32_f64_e32 v1, v[1:2]
	v_cvt_f32_f64_e32 v2, v[3:4]
	global_store_dwordx2 v[5:6], v[1:2], off
	global_load_dwordx2 v[7:8], v90, s[8:9] offset:3960
	v_add_u32_e32 v1, 0xc00, v0
	ds_read2_b64 v[1:4], v1 offset0:111 offset1:166
	s_waitcnt vmcnt(0) lgkmcnt(0)
	v_mul_f32_e32 v9, v2, v8
	v_mul_f32_e32 v8, v1, v8
	v_fmac_f32_e32 v9, v1, v7
	v_fma_f32 v7, v7, v2, -v8
	v_cvt_f64_f32_e32 v[1:2], v9
	v_cvt_f64_f32_e32 v[7:8], v7
	v_mov_b32_e32 v9, s9
	v_addc_co_u32_e32 v11, vcc, 0, v9, vcc
	v_mul_f64 v[1:2], v[1:2], s[0:1]
	v_mul_f64 v[7:8], v[7:8], s[0:1]
	v_add_co_u32_e32 v9, vcc, s4, v10
	v_addc_co_u32_e32 v10, vcc, 0, v11, vcc
	v_add_co_u32_e32 v5, vcc, s2, v5
	v_cvt_f32_f64_e32 v1, v[1:2]
	v_cvt_f32_f64_e32 v2, v[7:8]
	v_addc_co_u32_e32 v6, vcc, v6, v12, vcc
	global_store_dwordx2 v[5:6], v[1:2], off
	global_load_dwordx2 v[1:2], v[9:10], off offset:304
	v_add_co_u32_e32 v5, vcc, s2, v5
	s_waitcnt vmcnt(0)
	v_mul_f32_e32 v7, v4, v2
	v_mul_f32_e32 v2, v3, v2
	v_fmac_f32_e32 v7, v3, v1
	v_fma_f32 v3, v1, v4, -v2
	v_cvt_f64_f32_e32 v[1:2], v7
	v_cvt_f64_f32_e32 v[3:4], v3
	v_mov_b32_e32 v7, s3
	v_addc_co_u32_e32 v6, vcc, v6, v7, vcc
	v_mul_f64 v[1:2], v[1:2], s[0:1]
	v_mul_f64 v[3:4], v[3:4], s[0:1]
	v_cvt_f32_f64_e32 v1, v[1:2]
	v_cvt_f32_f64_e32 v2, v[3:4]
	global_store_dwordx2 v[5:6], v[1:2], off
	global_load_dwordx2 v[7:8], v[9:10], off offset:744
	v_add_u32_e32 v1, 0x1000, v0
	ds_read2_b64 v[1:4], v1 offset0:93 offset1:148
	v_add_co_u32_e32 v5, vcc, s2, v5
	s_waitcnt vmcnt(0) lgkmcnt(0)
	v_mul_f32_e32 v11, v2, v8
	v_mul_f32_e32 v8, v1, v8
	v_fmac_f32_e32 v11, v1, v7
	v_fma_f32 v7, v7, v2, -v8
	v_cvt_f64_f32_e32 v[1:2], v11
	v_cvt_f64_f32_e32 v[7:8], v7
	v_mov_b32_e32 v11, s3
	v_addc_co_u32_e32 v6, vcc, v6, v11, vcc
	v_mul_f64 v[1:2], v[1:2], s[0:1]
	v_mul_f64 v[7:8], v[7:8], s[0:1]
	v_cvt_f32_f64_e32 v1, v[1:2]
	v_cvt_f32_f64_e32 v2, v[7:8]
	global_store_dwordx2 v[5:6], v[1:2], off
	global_load_dwordx2 v[1:2], v[9:10], off offset:1184
	v_add_co_u32_e32 v5, vcc, s2, v5
	s_waitcnt vmcnt(0)
	v_mul_f32_e32 v7, v4, v2
	v_mul_f32_e32 v2, v3, v2
	v_fmac_f32_e32 v7, v3, v1
	v_fma_f32 v3, v1, v4, -v2
	v_cvt_f64_f32_e32 v[1:2], v7
	v_cvt_f64_f32_e32 v[3:4], v3
	v_mov_b32_e32 v7, s3
	v_addc_co_u32_e32 v6, vcc, v6, v7, vcc
	v_mul_f64 v[1:2], v[1:2], s[0:1]
	v_mul_f64 v[3:4], v[3:4], s[0:1]
	v_cvt_f32_f64_e32 v1, v[1:2]
	v_cvt_f32_f64_e32 v2, v[3:4]
	global_store_dwordx2 v[5:6], v[1:2], off
	global_load_dwordx2 v[7:8], v[9:10], off offset:1624
	v_add_u32_e32 v1, 0x1400, v0
	ds_read2_b64 v[1:4], v1 offset0:75 offset1:130
	v_add_co_u32_e32 v5, vcc, s2, v5
	v_add_u32_e32 v0, 0x1800, v0
	s_waitcnt vmcnt(0) lgkmcnt(0)
	v_mul_f32_e32 v11, v2, v8
	v_mul_f32_e32 v8, v1, v8
	v_fmac_f32_e32 v11, v1, v7
	v_fma_f32 v7, v7, v2, -v8
	v_cvt_f64_f32_e32 v[1:2], v11
	v_cvt_f64_f32_e32 v[7:8], v7
	v_mov_b32_e32 v11, s3
	v_addc_co_u32_e32 v6, vcc, v6, v11, vcc
	v_mul_f64 v[1:2], v[1:2], s[0:1]
	v_mul_f64 v[7:8], v[7:8], s[0:1]
	v_cvt_f32_f64_e32 v1, v[1:2]
	v_cvt_f32_f64_e32 v2, v[7:8]
	global_store_dwordx2 v[5:6], v[1:2], off
	global_load_dwordx2 v[1:2], v[9:10], off offset:2064
	s_waitcnt vmcnt(0)
	v_mul_f32_e32 v7, v4, v2
	v_mul_f32_e32 v2, v3, v2
	v_fmac_f32_e32 v7, v3, v1
	v_fma_f32 v3, v1, v4, -v2
	v_cvt_f64_f32_e32 v[1:2], v7
	v_cvt_f64_f32_e32 v[3:4], v3
	v_mov_b32_e32 v7, s3
	v_mul_f64 v[1:2], v[1:2], s[0:1]
	v_mul_f64 v[3:4], v[3:4], s[0:1]
	v_cvt_f32_f64_e32 v1, v[1:2]
	v_cvt_f32_f64_e32 v2, v[3:4]
	v_add_co_u32_e32 v4, vcc, s2, v5
	v_addc_co_u32_e32 v5, vcc, v6, v7, vcc
	global_store_dwordx2 v[4:5], v[1:2], off
	global_load_dwordx2 v[6:7], v[9:10], off offset:2504
	ds_read2_b64 v[0:3], v0 offset0:57 offset1:112
	v_add_co_u32_e32 v4, vcc, s2, v4
	s_waitcnt vmcnt(0) lgkmcnt(0)
	v_mul_f32_e32 v8, v1, v7
	v_mul_f32_e32 v7, v0, v7
	v_fmac_f32_e32 v8, v0, v6
	v_fma_f32 v6, v6, v1, -v7
	v_cvt_f64_f32_e32 v[0:1], v8
	v_cvt_f64_f32_e32 v[6:7], v6
	v_mov_b32_e32 v8, s3
	v_addc_co_u32_e32 v5, vcc, v5, v8, vcc
	v_mul_f64 v[0:1], v[0:1], s[0:1]
	v_mul_f64 v[6:7], v[6:7], s[0:1]
	v_cvt_f32_f64_e32 v0, v[0:1]
	v_cvt_f32_f64_e32 v1, v[6:7]
	global_store_dwordx2 v[4:5], v[0:1], off
	global_load_dwordx2 v[0:1], v[9:10], off offset:2944
	s_waitcnt vmcnt(0)
	v_mul_f32_e32 v6, v3, v1
	v_mul_f32_e32 v1, v2, v1
	v_fmac_f32_e32 v6, v2, v0
	v_fma_f32 v2, v0, v3, -v1
	v_cvt_f64_f32_e32 v[0:1], v6
	v_cvt_f64_f32_e32 v[2:3], v2
	v_mov_b32_e32 v6, s3
	v_mul_f64 v[0:1], v[0:1], s[0:1]
	v_mul_f64 v[2:3], v[2:3], s[0:1]
	v_cvt_f32_f64_e32 v0, v[0:1]
	v_cvt_f32_f64_e32 v1, v[2:3]
	v_add_co_u32_e32 v2, vcc, s2, v4
	v_addc_co_u32_e32 v3, vcc, v5, v6, vcc
	global_store_dwordx2 v[2:3], v[0:1], off
.LBB0_23:
	s_endpgm
	.section	.rodata,"a",@progbits
	.p2align	6, 0x0
	.amdhsa_kernel bluestein_single_back_len935_dim1_sp_op_CI_CI
		.amdhsa_group_segment_fixed_size 22440
		.amdhsa_private_segment_fixed_size 52
		.amdhsa_kernarg_size 104
		.amdhsa_user_sgpr_count 6
		.amdhsa_user_sgpr_private_segment_buffer 1
		.amdhsa_user_sgpr_dispatch_ptr 0
		.amdhsa_user_sgpr_queue_ptr 0
		.amdhsa_user_sgpr_kernarg_segment_ptr 1
		.amdhsa_user_sgpr_dispatch_id 0
		.amdhsa_user_sgpr_flat_scratch_init 0
		.amdhsa_user_sgpr_private_segment_size 0
		.amdhsa_uses_dynamic_stack 0
		.amdhsa_system_sgpr_private_segment_wavefront_offset 1
		.amdhsa_system_sgpr_workgroup_id_x 1
		.amdhsa_system_sgpr_workgroup_id_y 0
		.amdhsa_system_sgpr_workgroup_id_z 0
		.amdhsa_system_sgpr_workgroup_info 0
		.amdhsa_system_vgpr_workitem_id 0
		.amdhsa_next_free_vgpr 256
		.amdhsa_next_free_sgpr 28
		.amdhsa_reserve_vcc 1
		.amdhsa_reserve_flat_scratch 0
		.amdhsa_float_round_mode_32 0
		.amdhsa_float_round_mode_16_64 0
		.amdhsa_float_denorm_mode_32 3
		.amdhsa_float_denorm_mode_16_64 3
		.amdhsa_dx10_clamp 1
		.amdhsa_ieee_mode 1
		.amdhsa_fp16_overflow 0
		.amdhsa_exception_fp_ieee_invalid_op 0
		.amdhsa_exception_fp_denorm_src 0
		.amdhsa_exception_fp_ieee_div_zero 0
		.amdhsa_exception_fp_ieee_overflow 0
		.amdhsa_exception_fp_ieee_underflow 0
		.amdhsa_exception_fp_ieee_inexact 0
		.amdhsa_exception_int_div_zero 0
	.end_amdhsa_kernel
	.text
.Lfunc_end0:
	.size	bluestein_single_back_len935_dim1_sp_op_CI_CI, .Lfunc_end0-bluestein_single_back_len935_dim1_sp_op_CI_CI
                                        ; -- End function
	.section	.AMDGPU.csdata,"",@progbits
; Kernel info:
; codeLenInByte = 22552
; NumSgprs: 32
; NumVgprs: 256
; ScratchSize: 52
; MemoryBound: 0
; FloatMode: 240
; IeeeMode: 1
; LDSByteSize: 22440 bytes/workgroup (compile time only)
; SGPRBlocks: 3
; VGPRBlocks: 63
; NumSGPRsForWavesPerEU: 32
; NumVGPRsForWavesPerEU: 256
; Occupancy: 1
; WaveLimiterHint : 1
; COMPUTE_PGM_RSRC2:SCRATCH_EN: 1
; COMPUTE_PGM_RSRC2:USER_SGPR: 6
; COMPUTE_PGM_RSRC2:TRAP_HANDLER: 0
; COMPUTE_PGM_RSRC2:TGID_X_EN: 1
; COMPUTE_PGM_RSRC2:TGID_Y_EN: 0
; COMPUTE_PGM_RSRC2:TGID_Z_EN: 0
; COMPUTE_PGM_RSRC2:TIDIG_COMP_CNT: 0
	.type	__hip_cuid_aa44ad6e6404f96c,@object ; @__hip_cuid_aa44ad6e6404f96c
	.section	.bss,"aw",@nobits
	.globl	__hip_cuid_aa44ad6e6404f96c
__hip_cuid_aa44ad6e6404f96c:
	.byte	0                               ; 0x0
	.size	__hip_cuid_aa44ad6e6404f96c, 1

	.ident	"AMD clang version 19.0.0git (https://github.com/RadeonOpenCompute/llvm-project roc-6.4.0 25133 c7fe45cf4b819c5991fe208aaa96edf142730f1d)"
	.section	".note.GNU-stack","",@progbits
	.addrsig
	.addrsig_sym __hip_cuid_aa44ad6e6404f96c
	.amdgpu_metadata
---
amdhsa.kernels:
  - .args:
      - .actual_access:  read_only
        .address_space:  global
        .offset:         0
        .size:           8
        .value_kind:     global_buffer
      - .actual_access:  read_only
        .address_space:  global
        .offset:         8
        .size:           8
        .value_kind:     global_buffer
      - .actual_access:  read_only
        .address_space:  global
        .offset:         16
        .size:           8
        .value_kind:     global_buffer
      - .actual_access:  read_only
        .address_space:  global
        .offset:         24
        .size:           8
        .value_kind:     global_buffer
      - .actual_access:  read_only
        .address_space:  global
        .offset:         32
        .size:           8
        .value_kind:     global_buffer
      - .offset:         40
        .size:           8
        .value_kind:     by_value
      - .address_space:  global
        .offset:         48
        .size:           8
        .value_kind:     global_buffer
      - .address_space:  global
        .offset:         56
        .size:           8
        .value_kind:     global_buffer
      - .address_space:  global
        .offset:         64
        .size:           8
        .value_kind:     global_buffer
      - .address_space:  global
        .offset:         72
        .size:           8
        .value_kind:     global_buffer
      - .offset:         80
        .size:           4
        .value_kind:     by_value
      - .address_space:  global
        .offset:         88
        .size:           8
        .value_kind:     global_buffer
      - .address_space:  global
        .offset:         96
        .size:           8
        .value_kind:     global_buffer
    .group_segment_fixed_size: 22440
    .kernarg_segment_align: 8
    .kernarg_segment_size: 104
    .language:       OpenCL C
    .language_version:
      - 2
      - 0
    .max_flat_workgroup_size: 255
    .name:           bluestein_single_back_len935_dim1_sp_op_CI_CI
    .private_segment_fixed_size: 52
    .sgpr_count:     32
    .sgpr_spill_count: 0
    .symbol:         bluestein_single_back_len935_dim1_sp_op_CI_CI.kd
    .uniform_work_group_size: 1
    .uses_dynamic_stack: false
    .vgpr_count:     256
    .vgpr_spill_count: 12
    .wavefront_size: 64
amdhsa.target:   amdgcn-amd-amdhsa--gfx906
amdhsa.version:
  - 1
  - 2
...

	.end_amdgpu_metadata
